;; amdgpu-corpus repo=ROCm/rocFFT kind=compiled arch=gfx1030 opt=O3
	.text
	.amdgcn_target "amdgcn-amd-amdhsa--gfx1030"
	.amdhsa_code_object_version 6
	.protected	bluestein_single_back_len2916_dim1_sp_op_CI_CI ; -- Begin function bluestein_single_back_len2916_dim1_sp_op_CI_CI
	.globl	bluestein_single_back_len2916_dim1_sp_op_CI_CI
	.p2align	8
	.type	bluestein_single_back_len2916_dim1_sp_op_CI_CI,@function
bluestein_single_back_len2916_dim1_sp_op_CI_CI: ; @bluestein_single_back_len2916_dim1_sp_op_CI_CI
; %bb.0:
	s_load_dwordx4 s[12:15], s[4:5], 0x28
	v_mul_u32_u24_e32 v1, 0x10e, v0
	v_mov_b32_e32 v125, 0
	s_mov_b32 s0, exec_lo
	v_lshrrev_b32_e32 v1, 16, v1
	v_add_nc_u32_e32 v124, s6, v1
	s_waitcnt lgkmcnt(0)
	v_cmpx_gt_u64_e64 s[12:13], v[124:125]
	s_cbranch_execz .LBB0_2
; %bb.1:
	s_clause 0x1
	s_load_dwordx4 s[0:3], s[4:5], 0x18
	s_load_dwordx4 s[8:11], s[4:5], 0x0
	v_mul_lo_u16 v1, 0xf3, v1
	v_mov_b32_e32 v68, 3
	s_load_dwordx2 s[4:5], s[4:5], 0x38
	v_sub_nc_u16 v66, v0, v1
	v_and_b32_e32 v132, 0xffff, v66
	v_lshlrev_b32_e32 v131, 3, v132
	v_add_co_u32 v70, null, 0x1e6, v132
	s_waitcnt lgkmcnt(0)
	s_load_dwordx4 s[16:19], s[0:1], 0x0
	s_clause 0x1
	global_load_dwordx2 v[102:103], v131, s[8:9]
	global_load_dwordx2 v[100:101], v131, s[8:9] offset:1944
	v_add_co_u32 v80, s0, s8, v131
	v_add_co_ci_u32_e64 v81, null, s9, 0, s0
	v_add_nc_u32_e32 v137, 0xf00, v131
	v_add_co_u32 v0, vcc_lo, 0x800, v80
	v_add_co_ci_u32_e32 v1, vcc_lo, 0, v81, vcc_lo
	v_add_co_u32 v2, vcc_lo, 0x1800, v80
	v_add_co_ci_u32_e32 v3, vcc_lo, 0, v81, vcc_lo
	v_add_co_u32 v4, vcc_lo, 0x2800, v80
	v_add_co_ci_u32_e32 v5, vcc_lo, 0, v81, vcc_lo
	s_waitcnt lgkmcnt(0)
	v_mad_u64_u32 v[6:7], null, s18, v124, 0
	v_add_co_u32 v8, vcc_lo, 0x3800, v80
	v_mad_u64_u32 v[10:11], null, s16, v132, 0
	v_add_co_ci_u32_e32 v9, vcc_lo, 0, v81, vcc_lo
	v_add_co_u32 v12, vcc_lo, 0x4800, v80
	v_mad_u64_u32 v[16:17], null, s19, v124, v[7:8]
	v_add_co_ci_u32_e32 v13, vcc_lo, 0, v81, vcc_lo
	;; [unrolled: 3-line block ×3, first 2 shown]
	v_add_co_u32 v24, vcc_lo, 0x2000, v80
	v_mov_b32_e32 v7, v16
	v_add_co_ci_u32_e32 v25, vcc_lo, 0, v81, vcc_lo
	v_add_co_u32 v26, vcc_lo, 0x3000, v80
	v_add_co_ci_u32_e32 v27, vcc_lo, 0, v81, vcc_lo
	v_add_co_u32 v28, vcc_lo, 0x4000, v80
	v_mov_b32_e32 v11, v17
	v_lshlrev_b64 v[6:7], 3, v[6:7]
	v_add_co_ci_u32_e32 v29, vcc_lo, 0, v81, vcc_lo
	v_add_co_u32 v30, vcc_lo, 0x5000, v80
	v_add_co_ci_u32_e32 v31, vcc_lo, 0, v81, vcc_lo
	v_lshlrev_b64 v[10:11], 3, v[10:11]
	v_add_co_u32 v6, vcc_lo, s14, v6
	v_add_co_ci_u32_e32 v7, vcc_lo, s15, v7, vcc_lo
	s_mul_i32 s0, s17, 0xf30
	v_add_co_u32 v6, vcc_lo, v6, v10
	v_add_co_ci_u32_e32 v7, vcc_lo, v7, v11, vcc_lo
	s_mul_hi_u32 s1, s16, 0xf30
	s_mul_i32 s6, s16, 0xf30
	s_add_i32 s1, s1, s0
	v_add_co_u32 v16, vcc_lo, v6, s6
	v_add_co_ci_u32_e32 v17, vcc_lo, s1, v7, vcc_lo
	s_clause 0x1
	global_load_dwordx2 v[104:105], v[0:1], off offset:1840
	global_load_dwordx2 v[106:107], v[2:3], off offset:1632
	v_add_co_u32 v0, vcc_lo, v16, s6
	v_add_co_ci_u32_e32 v1, vcc_lo, s1, v17, vcc_lo
	s_clause 0x1
	global_load_dwordx2 v[10:11], v[6:7], off
	global_load_dwordx2 v[20:21], v[16:17], off
	v_add_co_u32 v2, vcc_lo, v0, s6
	v_add_co_ci_u32_e32 v3, vcc_lo, s1, v1, vcc_lo
	global_load_dwordx2 v[112:113], v[4:5], off offset:1424
	global_load_dwordx2 v[22:23], v[0:1], off
	global_load_dwordx2 v[114:115], v[8:9], off offset:1216
	v_add_co_u32 v6, vcc_lo, v2, s6
	v_add_co_ci_u32_e32 v7, vcc_lo, s1, v3, vcc_lo
	s_mul_i32 s0, s17, 0xffffbba8
	v_add_co_u32 v16, vcc_lo, v6, s6
	v_add_co_ci_u32_e32 v17, vcc_lo, s1, v7, vcc_lo
	s_sub_i32 s0, s0, s16
	s_clause 0x1
	global_load_dwordx2 v[116:117], v[12:13], off offset:1008
	global_load_dwordx2 v[108:109], v[14:15], off offset:1736
	global_load_dwordx2 v[18:19], v[2:3], off
	global_load_dwordx2 v[110:111], v[24:25], off offset:1528
	v_mad_u64_u32 v[0:1], null, 0xffffbba8, s16, v[16:17]
	global_load_dwordx2 v[14:15], v[6:7], off
	global_load_dwordx2 v[12:13], v[16:17], off
	v_add_nc_u32_e32 v135, 0x1e00, v131
	v_add_nc_u32_e32 v136, 0x2d80, v131
	;; [unrolled: 1-line block ×5, first 2 shown]
	v_add_co_u32 v2, vcc_lo, v0, s6
	global_load_dwordx2 v[16:17], v[0:1], off
	global_load_dwordx2 v[118:119], v[26:27], off offset:1320
	v_add_co_ci_u32_e32 v3, vcc_lo, s1, v1, vcc_lo
	v_add_co_u32 v0, vcc_lo, v2, s6
	v_mov_b32_e32 v26, 0xaaab
	v_add_co_ci_u32_e32 v1, vcc_lo, s1, v3, vcc_lo
	global_load_dwordx2 v[4:5], v[2:3], off
	v_add_co_u32 v2, vcc_lo, v0, s6
	v_add_co_ci_u32_e32 v3, vcc_lo, s1, v1, vcc_lo
	global_load_dwordx2 v[6:7], v[0:1], off
	v_add_co_u32 v8, vcc_lo, v2, s6
	;; [unrolled: 3-line block ×3, first 2 shown]
	v_add_co_ci_u32_e32 v25, vcc_lo, s1, v9, vcc_lo
	global_load_dwordx2 v[120:121], v[28:29], off offset:1112
	global_load_dwordx2 v[2:3], v[8:9], off
	global_load_dwordx2 v[122:123], v[30:31], off offset:904
	global_load_dwordx2 v[8:9], v[24:25], off
	v_and_b32_e32 v24, 0xff, v66
	v_add_co_u32 v67, s0, 0xf3, v132
	v_add_co_ci_u32_e64 v48, null, 0, 0, s0
	v_mul_lo_u16 v25, 0xab, v24
	v_mul_u32_u24_sdwa v26, v67, v26 dst_sel:DWORD dst_unused:UNUSED_PAD src0_sel:WORD_0 src1_sel:DWORD
	s_load_dwordx4 s[0:3], s[2:3], 0x0
	v_mul_lo_u16 v29, v66, 6
	v_add_co_u32 v69, null, 0x2d9, v132
	v_lshrrev_b16 v30, 10, v25
	v_lshrrev_b32_e32 v31, 18, v26
	v_lshlrev_b32_sdwa v83, v68, v29 dst_sel:DWORD dst_unused:UNUSED_PAD src0_sel:DWORD src1_sel:WORD_0
	v_cmp_gt_u16_e32 vcc_lo, 0x51, v66
	v_mul_lo_u16 v25, v30, 6
	v_mul_lo_u16 v26, v31, 6
	v_sub_nc_u16 v32, v66, v25
	v_sub_nc_u16 v49, v67, v26
	v_and_b32_e32 v50, 0xff, v32
	s_waitcnt vmcnt(19)
	v_mul_f32_e32 v25, v11, v103
	v_mul_f32_e32 v26, v10, v103
	s_waitcnt vmcnt(18)
	v_mul_f32_e32 v27, v21, v105
	v_mul_f32_e32 v28, v20, v105
	v_fmac_f32_e32 v25, v10, v102
	s_waitcnt vmcnt(16)
	v_mul_f32_e32 v10, v23, v107
	v_mul_f32_e32 v33, v22, v107
	v_fma_f32 v26, v11, v102, -v26
	v_fmac_f32_e32 v27, v20, v104
	v_fma_f32 v28, v21, v104, -v28
	v_fmac_f32_e32 v10, v22, v106
	v_fma_f32 v11, v23, v106, -v33
	ds_write_b64 v131, v[27:28] offset:3888
	s_waitcnt vmcnt(12)
	v_mul_f32_e32 v20, v19, v113
	v_mul_f32_e32 v21, v18, v113
	ds_write_b64 v131, v[10:11] offset:7776
	s_waitcnt vmcnt(10)
	v_mul_f32_e32 v22, v15, v115
	v_mul_f32_e32 v11, v14, v115
	v_fmac_f32_e32 v20, v18, v112
	s_waitcnt vmcnt(9)
	v_mul_f32_e32 v10, v13, v117
	v_mul_f32_e32 v18, v12, v117
	v_fma_f32 v21, v19, v112, -v21
	v_fmac_f32_e32 v22, v14, v114
	v_fma_f32 v23, v15, v114, -v11
	v_fmac_f32_e32 v10, v12, v116
	v_fma_f32 v11, v13, v116, -v18
	ds_write_b64 v131, v[20:21] offset:11664
	ds_write_b64 v131, v[22:23] offset:15552
	;; [unrolled: 1-line block ×3, first 2 shown]
	s_waitcnt vmcnt(8)
	v_mul_f32_e32 v14, v17, v101
	v_mul_f32_e32 v15, v16, v101
	s_waitcnt vmcnt(6)
	v_mul_f32_e32 v10, v5, v109
	v_mul_f32_e32 v11, v4, v109
	v_fmac_f32_e32 v14, v16, v100
	v_fma_f32 v15, v17, v100, -v15
	s_waitcnt vmcnt(5)
	v_mul_f32_e32 v13, v6, v111
	v_fmac_f32_e32 v10, v4, v108
	v_mul_f32_e32 v12, v7, v111
	v_fma_f32 v11, v5, v108, -v11
	ds_write2_b64 v131, v[25:26], v[14:15] offset1:243
	s_waitcnt vmcnt(4)
	v_mul_f32_e32 v4, v1, v119
	v_mul_f32_e32 v5, v0, v119
	v_fma_f32 v13, v7, v110, -v13
	s_waitcnt vmcnt(2)
	v_mul_f32_e32 v7, v2, v121
	v_fmac_f32_e32 v12, v6, v110
	v_fmac_f32_e32 v4, v0, v118
	v_mul_f32_e32 v0, v3, v121
	s_waitcnt vmcnt(0)
	v_mul_f32_e32 v6, v9, v123
	v_mul_f32_e32 v14, v8, v123
	v_fma_f32 v5, v1, v118, -v5
	v_fma_f32 v1, v3, v120, -v7
	v_fmac_f32_e32 v0, v2, v120
	v_fmac_f32_e32 v6, v8, v122
	v_fma_f32 v7, v9, v122, -v14
	ds_write_b64 v131, v[10:11] offset:5832
	ds_write_b64 v131, v[12:13] offset:9720
	;; [unrolled: 1-line block ×5, first 2 shown]
	s_waitcnt lgkmcnt(0)
	s_barrier
	buffer_gl0_inv
	ds_read2_b64 v[0:3], v131 offset1:243
	ds_read2_b64 v[4:7], v135 offset0:12 offset1:255
	ds_read2_b64 v[8:11], v133 offset0:8 offset1:251
	;; [unrolled: 1-line block ×5, first 2 shown]
	v_mul_lo_u16 v26, v49, 40
	v_mul_u32_u24_e32 v25, 6, v67
	s_waitcnt lgkmcnt(0)
	s_barrier
	buffer_gl0_inv
	v_and_b32_e32 v27, 0xffff, v26
	v_lshlrev_b32_e32 v82, 3, v25
	v_mad_u64_u32 v[25:26], null, v50, 40, s[10:11]
	v_add_co_u32 v27, s6, s10, v27
	v_add_co_ci_u32_e64 v28, null, s11, 0, s6
	v_add_f32_e32 v29, v0, v4
	v_add_f32_e32 v38, v13, v17
	;; [unrolled: 1-line block ×3, first 2 shown]
	v_sub_f32_e32 v37, v17, v21
	v_add_f32_e32 v17, v17, v21
	v_add_f32_e32 v32, v4, v8
	v_sub_f32_e32 v33, v5, v9
	v_add_f32_e32 v34, v1, v5
	v_add_f32_e32 v5, v5, v9
	v_add_f32_e32 v35, v12, v16
	v_sub_f32_e32 v41, v7, v11
	v_add_f32_e32 v42, v3, v7
	;; [unrolled: 4-line block ×3, first 2 shown]
	v_add_f32_e32 v19, v19, v23
	v_sub_f32_e32 v4, v4, v8
	v_sub_f32_e32 v16, v16, v20
	v_add_f32_e32 v43, v14, v18
	v_add_f32_e32 v8, v29, v8
	v_fma_f32 v29, -0.5, v36, v12
	v_fma_f32 v17, -0.5, v17, v13
	v_add_f32_e32 v39, v2, v6
	v_add_f32_e32 v40, v6, v10
	v_sub_f32_e32 v6, v6, v10
	v_sub_f32_e32 v18, v18, v22
	v_fma_f32 v0, -0.5, v32, v0
	v_fma_f32 v1, -0.5, v5, v1
	v_add_f32_e32 v20, v35, v20
	v_fmac_f32_e32 v3, -0.5, v7
	v_fma_f32 v14, -0.5, v44, v14
	v_fmac_f32_e32 v15, -0.5, v19
	v_add_f32_e32 v9, v34, v9
	v_add_f32_e32 v32, v42, v11
	;; [unrolled: 1-line block ×4, first 2 shown]
	v_fmamk_f32 v34, v37, 0x3f5db3d7, v29
	v_fmamk_f32 v35, v16, 0xbf5db3d7, v17
	v_add_f32_e32 v12, v38, v21
	v_add_f32_e32 v21, v39, v10
	v_fmac_f32_e32 v29, 0xbf5db3d7, v37
	v_fmac_f32_e32 v17, 0x3f5db3d7, v16
	v_fma_f32 v2, -0.5, v40, v2
	v_fmamk_f32 v23, v33, 0x3f5db3d7, v0
	v_fmac_f32_e32 v0, 0xbf5db3d7, v33
	v_fmamk_f32 v33, v4, 0xbf5db3d7, v1
	v_fmac_f32_e32 v1, 0x3f5db3d7, v4
	v_add_f32_e32 v4, v8, v20
	v_sub_f32_e32 v10, v8, v20
	v_fmamk_f32 v37, v6, 0xbf5db3d7, v3
	v_fmac_f32_e32 v3, 0x3f5db3d7, v6
	v_fmamk_f32 v6, v45, 0x3f5db3d7, v14
	v_fmamk_f32 v8, v18, 0xbf5db3d7, v15
	v_fmac_f32_e32 v14, 0xbf5db3d7, v45
	v_fmac_f32_e32 v15, 0x3f5db3d7, v18
	v_add_f32_e32 v13, v32, v22
	v_sub_f32_e32 v19, v32, v22
	v_mul_f32_e32 v16, 0x3f5db3d7, v35
	v_mul_f32_e32 v32, 0xbf5db3d7, v34
	v_add_f32_e32 v5, v9, v12
	v_sub_f32_e32 v11, v9, v12
	v_add_f32_e32 v12, v21, v7
	v_sub_f32_e32 v18, v21, v7
	v_mul_f32_e32 v21, -0.5, v29
	v_mul_f32_e32 v38, -0.5, v17
	v_fmamk_f32 v36, v41, 0x3f5db3d7, v2
	v_fmac_f32_e32 v2, 0xbf5db3d7, v41
	v_mul_f32_e32 v39, 0x3f5db3d7, v8
	v_mul_f32_e32 v41, 0xbf5db3d7, v6
	v_mul_f32_e32 v40, -0.5, v14
	v_mul_f32_e32 v42, -0.5, v15
	v_fmac_f32_e32 v16, 0.5, v34
	v_fmac_f32_e32 v32, 0.5, v35
	v_fmac_f32_e32 v21, 0x3f5db3d7, v17
	v_fmac_f32_e32 v38, 0xbf5db3d7, v29
	v_fmac_f32_e32 v39, 0.5, v6
	v_fmac_f32_e32 v41, 0.5, v8
	v_fmac_f32_e32 v40, 0x3f5db3d7, v15
	v_fmac_f32_e32 v42, 0xbf5db3d7, v14
	v_add_f32_e32 v6, v23, v16
	v_add_f32_e32 v7, v33, v32
	;; [unrolled: 1-line block ×4, first 2 shown]
	v_sub_f32_e32 v20, v23, v16
	v_sub_f32_e32 v22, v0, v21
	;; [unrolled: 1-line block ×4, first 2 shown]
	v_add_f32_e32 v14, v36, v39
	v_add_f32_e32 v15, v37, v41
	;; [unrolled: 1-line block ×4, first 2 shown]
	v_sub_f32_e32 v0, v36, v39
	v_sub_f32_e32 v2, v2, v40
	;; [unrolled: 1-line block ×4, first 2 shown]
	ds_write_b128 v83, v[4:7]
	ds_write_b128 v83, v[8:11] offset:16
	ds_write_b128 v83, v[20:23] offset:32
	ds_write_b128 v82, v[12:15]
	ds_write_b128 v82, v[16:19] offset:16
	ds_write_b128 v82, v[0:3] offset:32
	s_waitcnt lgkmcnt(0)
	s_barrier
	buffer_gl0_inv
	s_clause 0x5
	global_load_dwordx4 v[44:47], v[25:26], off
	global_load_dwordx4 v[40:43], v[27:28], off
	global_load_dwordx4 v[36:39], v[25:26], off offset:16
	global_load_dwordx4 v[32:35], v[27:28], off offset:16
	global_load_dwordx2 v[127:128], v[25:26], off offset:32
	global_load_dwordx2 v[125:126], v[27:28], off offset:32
	v_mov_b32_e32 v0, 0xe38f
	v_mul_lo_u16 v1, v24, 57
	v_mul_u32_u24_sdwa v2, v67, v0 dst_sel:DWORD dst_unused:UNUSED_PAD src0_sel:WORD_0 src1_sel:DWORD
	v_lshrrev_b16 v29, 11, v1
	v_mul_u32_u24_sdwa v1, v70, v0 dst_sel:DWORD dst_unused:UNUSED_PAD src0_sel:WORD_0 src1_sel:DWORD
	v_mul_u32_u24_sdwa v0, v69, v0 dst_sel:DWORD dst_unused:UNUSED_PAD src0_sel:WORD_0 src1_sel:DWORD
	v_lshrrev_b32_e32 v51, 21, v2
	v_mul_lo_u16 v2, v29, 36
	v_lshrrev_b32_e32 v52, 21, v1
	v_lshrrev_b32_e32 v53, 21, v0
	v_mov_b32_e32 v0, 36
	v_mul_lo_u16 v1, v51, 36
	v_sub_nc_u16 v2, v66, v2
	v_mul_lo_u16 v3, v52, 36
	v_mul_lo_u16 v4, v53, 36
	v_mul_u32_u24_sdwa v0, v30, v0 dst_sel:DWORD dst_unused:UNUSED_PAD src0_sel:WORD_0 src1_sel:DWORD
	v_sub_nc_u16 v30, v67, v1
	v_and_b32_e32 v54, 0xff, v2
	v_sub_nc_u16 v55, v70, v3
	v_sub_nc_u16 v56, v69, v4
	v_add_lshl_u32 v138, v0, v50, 3
	v_lshlrev_b16 v0, 4, v30
	v_mad_u16 v4, v31, 36, v49
	v_lshlrev_b16 v8, 4, v55
	v_lshlrev_b16 v9, 4, v56
	v_lshlrev_b32_e32 v31, 4, v54
	v_and_b32_e32 v12, 0xffff, v0
	ds_read2_b64 v[0:3], v137 offset0:6 offset1:249
	v_lshlrev_b32_sdwa v140, v68, v4 dst_sel:DWORD dst_unused:UNUSED_PAD src0_sel:DWORD src1_sel:WORD_0
	ds_read2_b64 v[4:7], v135 offset0:12 offset1:255
	v_and_b32_e32 v20, 0xffff, v8
	v_and_b32_e32 v49, 0xffff, v9
	ds_read2_b64 v[8:11], v136 offset0:2 offset1:245
	v_add_co_u32 v25, s6, s10, v12
	ds_read2_b64 v[12:15], v133 offset0:8 offset1:251
	ds_read2_b64 v[16:19], v134 offset0:6 offset1:249
	v_add_co_ci_u32_e64 v26, null, s11, 0, s6
	v_add_co_u32 v27, s6, s10, v20
	ds_read2_b64 v[20:23], v131 offset1:243
	v_add_co_ci_u32_e64 v28, null, s11, 0, s6
	s_waitcnt vmcnt(0) lgkmcnt(0)
	s_barrier
	buffer_gl0_inv
	v_mul_f32_e32 v57, v0, v45
	v_mul_f32_e32 v59, v3, v41
	;; [unrolled: 1-line block ×20, first 2 shown]
	v_fmac_f32_e32 v57, v1, v44
	v_fma_f32 v59, v2, v40, -v59
	v_fma_f32 v1, v6, v42, -v63
	;; [unrolled: 1-line block ×3, first 2 shown]
	v_fmac_f32_e32 v65, v9, v36
	v_fma_f32 v6, v16, v127, -v75
	v_fmac_f32_e32 v78, v17, v127
	v_fma_f32 v50, v0, v44, -v50
	;; [unrolled: 2-line block ×3, first 2 shown]
	v_fmac_f32_e32 v61, v5, v46
	v_fmac_f32_e32 v64, v7, v42
	v_fma_f32 v3, v10, v32, -v72
	v_fmac_f32_e32 v73, v11, v32
	v_fma_f32 v4, v12, v38, -v71
	;; [unrolled: 2-line block ×4, first 2 shown]
	v_fmac_f32_e32 v84, v19, v125
	v_add_f32_e32 v13, v65, v78
	v_add_f32_e32 v16, v2, v6
	;; [unrolled: 1-line block ×5, first 2 shown]
	v_sub_f32_e32 v11, v0, v4
	v_sub_f32_e32 v12, v61, v74
	v_add_f32_e32 v0, v61, v74
	v_add_f32_e32 v18, v22, v1
	v_add_f32_e32 v19, v1, v5
	v_sub_f32_e32 v58, v1, v5
	v_add_f32_e32 v1, v23, v64
	v_add_f32_e32 v61, v64, v77
	v_sub_f32_e32 v62, v64, v77
	v_add_f32_e32 v64, v3, v7
	v_add_f32_e32 v71, v73, v84
	;; [unrolled: 1-line block ×4, first 2 shown]
	v_sub_f32_e32 v2, v2, v6
	v_sub_f32_e32 v17, v65, v78
	v_fmac_f32_e32 v57, -0.5, v13
	v_fmac_f32_e32 v50, -0.5, v16
	v_add_f32_e32 v63, v59, v3
	v_sub_f32_e32 v3, v3, v7
	v_add_f32_e32 v65, v60, v73
	v_sub_f32_e32 v72, v73, v84
	v_fma_f32 v20, -0.5, v9, v20
	v_fma_f32 v21, -0.5, v0, v21
	v_fmac_f32_e32 v59, -0.5, v64
	v_fmac_f32_e32 v60, -0.5, v71
	v_add_f32_e32 v4, v8, v4
	v_add_f32_e32 v8, v10, v74
	;; [unrolled: 1-line block ×4, first 2 shown]
	v_fmamk_f32 v15, v2, 0xbf5db3d7, v57
	v_fmamk_f32 v16, v17, 0x3f5db3d7, v50
	v_fmac_f32_e32 v23, -0.5, v61
	v_fma_f32 v22, -0.5, v19, v22
	v_fmac_f32_e32 v50, 0xbf5db3d7, v17
	v_fmac_f32_e32 v57, 0x3f5db3d7, v2
	v_add_f32_e32 v9, v18, v5
	v_fmamk_f32 v18, v12, 0x3f5db3d7, v20
	v_fmamk_f32 v19, v11, 0xbf5db3d7, v21
	v_fmac_f32_e32 v20, 0xbf5db3d7, v12
	v_fmac_f32_e32 v21, 0x3f5db3d7, v11
	v_fmamk_f32 v11, v3, 0xbf5db3d7, v60
	v_fmamk_f32 v12, v72, 0x3f5db3d7, v59
	v_add_f32_e32 v13, v1, v77
	v_add_f32_e32 v7, v63, v7
	;; [unrolled: 1-line block ×3, first 2 shown]
	v_fmac_f32_e32 v60, 0x3f5db3d7, v3
	v_fmac_f32_e32 v59, 0xbf5db3d7, v72
	v_add_f32_e32 v1, v8, v10
	v_sub_f32_e32 v3, v8, v10
	v_mul_f32_e32 v10, 0x3f5db3d7, v15
	v_mul_f32_e32 v17, 0xbf5db3d7, v16
	v_fmamk_f32 v61, v58, 0xbf5db3d7, v23
	v_fmac_f32_e32 v23, 0x3f5db3d7, v58
	v_fmamk_f32 v58, v62, 0x3f5db3d7, v22
	v_fmac_f32_e32 v22, 0xbf5db3d7, v62
	v_mul_f32_e32 v62, -0.5, v50
	v_mul_f32_e32 v63, -0.5, v57
	v_mul_f32_e32 v65, 0x3f5db3d7, v11
	v_mul_f32_e32 v71, 0xbf5db3d7, v12
	v_add_f32_e32 v0, v4, v6
	v_sub_f32_e32 v2, v4, v6
	v_add_f32_e32 v4, v9, v7
	v_add_f32_e32 v5, v13, v14
	v_sub_f32_e32 v6, v9, v7
	v_sub_f32_e32 v7, v13, v14
	v_mul_f32_e32 v13, -0.5, v60
	v_mul_f32_e32 v64, -0.5, v59
	v_fmac_f32_e32 v10, 0.5, v16
	v_fmac_f32_e32 v17, 0.5, v15
	v_fmac_f32_e32 v62, 0x3f5db3d7, v57
	v_fmac_f32_e32 v63, 0xbf5db3d7, v50
	v_fmac_f32_e32 v65, 0.5, v12
	v_fmac_f32_e32 v71, 0.5, v11
	v_fmac_f32_e32 v13, 0xbf5db3d7, v59
	v_fmac_f32_e32 v64, 0x3f5db3d7, v60
	v_add_f32_e32 v8, v18, v10
	v_add_f32_e32 v9, v19, v17
	v_sub_f32_e32 v15, v19, v17
	v_add_f32_e32 v16, v20, v62
	v_add_f32_e32 v17, v21, v63
	v_sub_f32_e32 v14, v18, v10
	v_sub_f32_e32 v18, v20, v62
	v_sub_f32_e32 v19, v21, v63
	v_add_f32_e32 v20, v58, v65
	v_add_f32_e32 v21, v61, v71
	;; [unrolled: 1-line block ×4, first 2 shown]
	v_sub_f32_e32 v13, v23, v13
	v_sub_f32_e32 v12, v22, v64
	;; [unrolled: 1-line block ×4, first 2 shown]
	ds_write2_b64 v138, v[0:1], v[8:9] offset1:6
	ds_write2_b64 v138, v[16:17], v[2:3] offset0:12 offset1:18
	ds_write2_b64 v138, v[14:15], v[18:19] offset0:24 offset1:30
	ds_write2_b64 v140, v[4:5], v[20:21] offset1:6
	ds_write2_b64 v140, v[10:11], v[6:7] offset0:12 offset1:18
	ds_write2_b64 v140, v[22:23], v[12:13] offset0:24 offset1:30
	v_add_co_u32 v0, s6, s10, v49
	s_waitcnt lgkmcnt(0)
	s_barrier
	buffer_gl0_inv
	s_clause 0x1
	global_load_dwordx4 v[12:15], v31, s[10:11] offset:240
	global_load_dwordx4 v[8:11], v[25:26], off offset:240
	v_add_co_ci_u32_e64 v1, null, s11, 0, s6
	s_clause 0x1
	global_load_dwordx4 v[4:7], v[27:28], off offset:240
	global_load_dwordx4 v[0:3], v[0:1], off offset:240
	v_mul_lo_u16 v16, v24, 19
	v_mov_b32_e32 v17, 0x4bdb
	v_lshrrev_b16 v18, 2, v67
	v_lshrrev_b16 v19, 2, v69
	v_mad_u16 v21, 0x6c, v53, v56
	v_lshrrev_b16 v61, 11, v16
	v_lshrrev_b16 v16, 2, v70
	v_mul_u32_u24_sdwa v18, v18, v17 dst_sel:DWORD dst_unused:UNUSED_PAD src0_sel:WORD_0 src1_sel:DWORD
	v_lshlrev_b32_sdwa v143, v68, v21 dst_sel:DWORD dst_unused:UNUSED_PAD src0_sel:DWORD src1_sel:WORD_0
	v_mul_lo_u16 v20, 0x6c, v61
	v_mul_u32_u24_sdwa v16, v16, v17 dst_sel:DWORD dst_unused:UNUSED_PAD src0_sel:WORD_0 src1_sel:DWORD
	v_mul_u32_u24_sdwa v17, v19, v17 dst_sel:DWORD dst_unused:UNUSED_PAD src0_sel:WORD_0 src1_sel:DWORD
	v_lshrrev_b32_e32 v62, 19, v18
	v_mov_b32_e32 v19, 0x6c
	v_sub_nc_u16 v18, v66, v20
	v_lshrrev_b32_e32 v63, 19, v16
	v_lshrrev_b32_e32 v75, 19, v17
	v_mul_lo_u16 v17, 0x6c, v62
	v_mul_u32_u24_sdwa v16, v29, v19 dst_sel:DWORD dst_unused:UNUSED_PAD src0_sel:WORD_0 src1_sel:DWORD
	v_and_b32_e32 v76, 0xff, v18
	v_mul_lo_u16 v18, 0x6c, v63
	v_mul_lo_u16 v19, 0x6c, v75
	v_mad_u16 v20, 0x6c, v52, v55
	v_sub_nc_u16 v77, v67, v17
	v_add_lshl_u32 v139, v16, v54, 3
	v_sub_nc_u16 v78, v70, v18
	v_sub_nc_u16 v79, v69, v19
	v_lshlrev_b32_sdwa v141, v68, v20 dst_sel:DWORD dst_unused:UNUSED_PAD src0_sel:DWORD src1_sel:WORD_0
	v_lshlrev_b16 v20, 4, v77
	v_mad_u16 v16, 0x6c, v51, v30
	v_lshlrev_b16 v22, 4, v78
	v_lshlrev_b16 v23, 4, v79
	v_lshlrev_b32_e32 v64, 4, v76
	v_and_b32_e32 v28, 0xffff, v20
	v_lshlrev_b32_sdwa v142, v68, v16 dst_sel:DWORD dst_unused:UNUSED_PAD src0_sel:DWORD src1_sel:WORD_0
	ds_read2_b64 v[16:19], v135 offset0:12 offset1:255
	v_and_b32_e32 v49, 0xffff, v22
	v_and_b32_e32 v65, 0xffff, v23
	ds_read2_b64 v[20:23], v133 offset0:8 offset1:251
	ds_read2_b64 v[24:27], v136 offset0:2 offset1:245
	v_add_co_u32 v57, s6, s10, v28
	ds_read2_b64 v[28:31], v134 offset0:6 offset1:249
	v_add_co_ci_u32_e64 v58, null, s11, 0, s6
	v_add_co_u32 v59, s6, s10, v49
	ds_read2_b64 v[49:52], v131 offset1:243
	ds_read2_b64 v[53:56], v137 offset0:6 offset1:249
	v_add_co_ci_u32_e64 v60, null, s11, 0, s6
	s_waitcnt vmcnt(0) lgkmcnt(0)
	s_barrier
	buffer_gl0_inv
	v_mul_f32_e32 v71, v17, v13
	v_mul_f32_e32 v72, v16, v13
	;; [unrolled: 1-line block ×16, first 2 shown]
	v_fma_f32 v16, v16, v12, -v71
	v_fmac_f32_e32 v72, v17, v12
	v_fma_f32 v17, v18, v8, -v73
	v_fma_f32 v18, v20, v14, -v84
	v_fmac_f32_e32 v85, v21, v14
	v_fmac_f32_e32 v74, v19, v8
	v_fma_f32 v20, v22, v10, -v86
	v_fmac_f32_e32 v87, v23, v10
	v_fma_f32 v19, v24, v4, -v88
	;; [unrolled: 2-line block ×5, first 2 shown]
	v_fmac_f32_e32 v95, v31, v2
	v_add_f32_e32 v24, v72, v85
	v_add_f32_e32 v25, v49, v16
	;; [unrolled: 1-line block ×8, first 2 shown]
	v_sub_f32_e32 v30, v72, v85
	v_sub_f32_e32 v31, v16, v18
	v_add_f32_e32 v28, v52, v74
	v_add_f32_e32 v84, v54, v89
	v_sub_f32_e32 v86, v89, v93
	v_add_f32_e32 v89, v53, v19
	v_sub_f32_e32 v92, v19, v22
	v_add_f32_e32 v94, v56, v91
	v_sub_f32_e32 v96, v91, v95
	v_add_f32_e32 v91, v91, v95
	v_add_f32_e32 v98, v21, v26
	;; [unrolled: 1-line block ×3, first 2 shown]
	v_fma_f32 v18, -0.5, v27, v49
	v_fma_f32 v19, -0.5, v24, v50
	v_sub_f32_e32 v71, v74, v87
	v_add_f32_e32 v72, v51, v17
	v_sub_f32_e32 v74, v17, v20
	v_fma_f32 v51, -0.5, v73, v51
	v_fmac_f32_e32 v52, -0.5, v29
	v_fma_f32 v24, -0.5, v90, v53
	v_fma_f32 v25, -0.5, v88, v54
	v_add_f32_e32 v97, v55, v21
	v_sub_f32_e32 v99, v21, v26
	v_add_f32_e32 v17, v23, v85
	v_add_f32_e32 v21, v28, v87
	v_fma_f32 v55, -0.5, v98, v55
	v_fmac_f32_e32 v56, -0.5, v91
	v_fmamk_f32 v28, v30, 0x3f5db3d7, v18
	v_fmamk_f32 v29, v31, 0xbf5db3d7, v19
	v_fmac_f32_e32 v18, 0xbf5db3d7, v30
	v_fmac_f32_e32 v19, 0x3f5db3d7, v31
	v_add_f32_e32 v20, v72, v20
	v_fmamk_f32 v30, v71, 0x3f5db3d7, v51
	v_fmamk_f32 v31, v74, 0xbf5db3d7, v52
	v_fmac_f32_e32 v51, 0xbf5db3d7, v71
	v_fmac_f32_e32 v52, 0x3f5db3d7, v74
	v_add_f32_e32 v23, v84, v93
	v_add_f32_e32 v22, v89, v22
	v_fmamk_f32 v49, v86, 0x3f5db3d7, v24
	v_fmamk_f32 v50, v92, 0xbf5db3d7, v25
	v_add_f32_e32 v27, v94, v95
	v_add_f32_e32 v26, v97, v26
	v_fmac_f32_e32 v24, 0xbf5db3d7, v86
	v_fmac_f32_e32 v25, 0x3f5db3d7, v92
	v_fmamk_f32 v53, v96, 0x3f5db3d7, v55
	v_fmamk_f32 v54, v99, 0xbf5db3d7, v56
	v_fmac_f32_e32 v55, 0xbf5db3d7, v96
	v_fmac_f32_e32 v56, 0x3f5db3d7, v99
	ds_write2_b64 v139, v[16:17], v[28:29] offset1:36
	ds_write_b64 v139, v[18:19] offset:576
	ds_write2_b64 v142, v[20:21], v[30:31] offset1:36
	ds_write_b64 v142, v[51:52] offset:576
	;; [unrolled: 2-line block ×4, first 2 shown]
	v_add_co_u32 v16, s6, s10, v65
	v_add_co_ci_u32_e64 v17, null, s11, 0, s6
	s_waitcnt lgkmcnt(0)
	s_barrier
	buffer_gl0_inv
	s_clause 0x3
	global_load_dwordx4 v[28:31], v64, s[10:11] offset:816
	global_load_dwordx4 v[24:27], v[57:58], off offset:816
	global_load_dwordx4 v[20:23], v[59:60], off offset:816
	;; [unrolled: 1-line block ×3, first 2 shown]
	v_mov_b32_e32 v50, 0x6523
	v_add_co_u32 v51, s6, 0xffffffaf, v132
	v_add_co_ci_u32_e64 v52, null, 0, -1, s6
	v_lshlrev_b32_e32 v53, 4, v132
	v_cndmask_b32_e32 v64, v51, v67, vcc_lo
	v_mul_u32_u24_sdwa v51, v70, v50 dst_sel:DWORD dst_unused:UNUSED_PAD src0_sel:WORD_0 src1_sel:DWORD
	v_mov_b32_e32 v49, 0x144
	v_mul_u32_u24_sdwa v50, v69, v50 dst_sel:DWORD dst_unused:UNUSED_PAD src0_sel:WORD_0 src1_sel:DWORD
	v_cndmask_b32_e32 v65, v52, v48, vcc_lo
	v_add_co_u32 v72, s6, s10, v53
	v_lshrrev_b32_e32 v71, 23, v51
	v_add_co_ci_u32_e64 v73, null, s11, 0, s6
	v_mul_u32_u24_sdwa v52, v61, v49 dst_sel:DWORD dst_unused:UNUSED_PAD src0_sel:WORD_0 src1_sel:DWORD
	v_lshrrev_b32_e32 v50, 23, v50
	v_lshlrev_b64 v[48:49], 4, v[64:65]
	v_mul_lo_u16 v51, 0x144, v71
	v_add_co_u32 v88, vcc_lo, 0x800, v72
	v_add_co_ci_u32_e32 v89, vcc_lo, 0, v73, vcc_lo
	v_mul_lo_u16 v50, 0x144, v50
	v_add_co_u32 v48, vcc_lo, s10, v48
	v_sub_nc_u16 v74, v70, v51
	v_add_co_ci_u32_e32 v49, vcc_lo, s11, v49, vcc_lo
	v_sub_nc_u16 v65, v69, v50
	v_add_co_u32 v90, vcc_lo, 0x800, v48
	v_lshlrev_b16 v48, 4, v74
	v_add_co_ci_u32_e32 v91, vcc_lo, 0, v49, vcc_lo
	v_lshlrev_b16 v49, 4, v65
	v_add_lshl_u32 v144, v52, v76, 3
	v_mad_u16 v50, 0x144, v62, v77
	v_mad_u16 v51, 0x144, v63, v78
	;; [unrolled: 1-line block ×3, first 2 shown]
	v_and_b32_e32 v53, 0xffff, v48
	v_and_b32_e32 v60, 0xffff, v49
	v_lshlrev_b32_sdwa v147, v68, v50 dst_sel:DWORD dst_unused:UNUSED_PAD src0_sel:DWORD src1_sel:WORD_0
	v_lshlrev_b32_sdwa v146, v68, v51 dst_sel:DWORD dst_unused:UNUSED_PAD src0_sel:DWORD src1_sel:WORD_0
	;; [unrolled: 1-line block ×3, first 2 shown]
	ds_read2_b64 v[48:51], v135 offset0:12 offset1:255
	v_add_co_u32 v75, s6, s10, v53
	ds_read2_b64 v[52:55], v133 offset0:8 offset1:251
	ds_read2_b64 v[56:59], v136 offset0:2 offset1:245
	v_add_co_ci_u32_e64 v76, null, s11, 0, s6
	v_add_co_u32 v79, s6, s10, v60
	ds_read2_b64 v[60:63], v134 offset0:6 offset1:249
	v_add_co_u32 v92, vcc_lo, 0x800, v75
	v_add_co_ci_u32_e32 v93, vcc_lo, 0, v76, vcc_lo
	ds_read2_b64 v[75:78], v131 offset1:243
	ds_read2_b64 v[84:87], v137 offset0:6 offset1:249
	v_add_co_ci_u32_e64 v94, null, s11, 0, s6
	s_waitcnt vmcnt(0) lgkmcnt(0)
	s_barrier
	buffer_gl0_inv
	v_lshlrev_b32_e32 v67, 4, v67
	v_lshlrev_b32_e32 v70, 4, v70
	;; [unrolled: 1-line block ×3, first 2 shown]
	v_mul_f32_e32 v95, v49, v29
	v_mul_f32_e32 v96, v48, v29
	;; [unrolled: 1-line block ×16, first 2 shown]
	v_fma_f32 v48, v48, v28, -v95
	v_fmac_f32_e32 v96, v49, v28
	v_fma_f32 v49, v50, v24, -v97
	v_fmac_f32_e32 v98, v51, v24
	;; [unrolled: 2-line block ×3, first 2 shown]
	v_fma_f32 v51, v56, v20, -v149
	v_fma_f32 v52, v54, v26, -v130
	v_fmac_f32_e32 v148, v55, v26
	v_fmac_f32_e32 v150, v57, v20
	v_fma_f32 v54, v60, v22, -v153
	v_fmac_f32_e32 v154, v61, v22
	v_fma_f32 v53, v58, v16, -v151
	;; [unrolled: 2-line block ×3, first 2 shown]
	v_fmac_f32_e32 v156, v63, v18
	v_add_f32_e32 v55, v76, v96
	v_sub_f32_e32 v62, v96, v129
	v_add_f32_e32 v56, v96, v129
	v_add_f32_e32 v57, v75, v48
	;; [unrolled: 1-line block ×8, first 2 shown]
	v_sub_f32_e32 v130, v150, v154
	v_add_f32_e32 v150, v150, v154
	v_add_f32_e32 v151, v51, v54
	v_sub_f32_e32 v63, v48, v50
	v_add_f32_e32 v60, v78, v98
	v_sub_f32_e32 v95, v98, v148
	v_sub_f32_e32 v98, v49, v52
	;; [unrolled: 1-line block ×3, first 2 shown]
	v_add_f32_e32 v155, v87, v152
	v_sub_f32_e32 v157, v152, v156
	v_add_f32_e32 v159, v53, v58
	v_add_f32_e32 v152, v152, v156
	v_add_f32_e32 v49, v55, v129
	v_add_f32_e32 v48, v57, v50
	v_add_f32_e32 v50, v96, v52
	v_add_f32_e32 v52, v149, v54
	v_fma_f32 v54, -0.5, v59, v75
	v_fma_f32 v55, -0.5, v56, v76
	;; [unrolled: 1-line block ×3, first 2 shown]
	v_fmac_f32_e32 v78, -0.5, v61
	v_fma_f32 v56, -0.5, v151, v84
	v_fma_f32 v57, -0.5, v150, v85
	v_add_f32_e32 v158, v86, v53
	v_sub_f32_e32 v160, v53, v58
	v_add_f32_e32 v51, v60, v148
	v_fma_f32 v86, -0.5, v159, v86
	v_fmac_f32_e32 v87, -0.5, v152
	v_fmamk_f32 v60, v62, 0x3f5db3d7, v54
	v_fmamk_f32 v61, v63, 0xbf5db3d7, v55
	v_fmac_f32_e32 v54, 0xbf5db3d7, v62
	v_fmac_f32_e32 v55, 0x3f5db3d7, v63
	v_fmamk_f32 v62, v95, 0x3f5db3d7, v77
	v_fmamk_f32 v63, v98, 0xbf5db3d7, v78
	v_fmac_f32_e32 v77, 0xbf5db3d7, v95
	v_fmac_f32_e32 v78, 0x3f5db3d7, v98
	v_add_f32_e32 v53, v99, v154
	v_fmamk_f32 v75, v130, 0x3f5db3d7, v56
	v_fmamk_f32 v76, v153, 0xbf5db3d7, v57
	v_add_f32_e32 v59, v155, v156
	v_add_f32_e32 v58, v158, v58
	v_fmac_f32_e32 v56, 0xbf5db3d7, v130
	v_fmac_f32_e32 v57, 0x3f5db3d7, v153
	v_fmamk_f32 v84, v157, 0x3f5db3d7, v86
	v_fmamk_f32 v85, v160, 0xbf5db3d7, v87
	v_fmac_f32_e32 v86, 0xbf5db3d7, v157
	v_fmac_f32_e32 v87, 0x3f5db3d7, v160
	ds_write2_b64 v144, v[48:49], v[60:61] offset1:108
	ds_write_b64 v144, v[54:55] offset:1728
	ds_write2_b64 v147, v[50:51], v[62:63] offset1:108
	ds_write_b64 v147, v[77:78] offset:1728
	;; [unrolled: 2-line block ×4, first 2 shown]
	v_add_co_u32 v52, vcc_lo, 0x800, v79
	s_waitcnt lgkmcnt(0)
	s_barrier
	buffer_gl0_inv
	s_clause 0x1
	global_load_dwordx4 v[60:63], v[88:89], off offset:496
	global_load_dwordx4 v[48:51], v[90:91], off offset:496
	v_add_co_ci_u32_e32 v53, vcc_lo, 0, v94, vcc_lo
	s_clause 0x1
	global_load_dwordx4 v[56:59], v[92:93], off offset:496
	global_load_dwordx4 v[52:55], v[52:53], off offset:496
	v_cmp_lt_u16_e32 vcc_lo, 0x50, v66
	ds_read2_b64 v[75:78], v135 offset0:12 offset1:255
	ds_read2_b64 v[84:87], v133 offset0:8 offset1:251
	;; [unrolled: 1-line block ×3, first 2 shown]
	v_lshlrev_b32_sdwa v151, v68, v65 dst_sel:DWORD dst_unused:UNUSED_PAD src0_sel:DWORD src1_sel:WORD_0
	v_cndmask_b32_e64 v66, 0, 0x3cc, vcc_lo
	v_add_co_u32 v96, vcc_lo, 0x1800, v72
	v_add_co_ci_u32_e32 v97, vcc_lo, 0, v73, vcc_lo
	v_add_lshl_u32 v150, v64, v66, 3
	v_add_co_u32 v64, s6, s10, v67
	v_add_co_ci_u32_e64 v66, null, s11, 0, s6
	v_add_co_u32 v98, s6, s10, v70
	v_add_co_ci_u32_e64 v99, null, s11, 0, s6
	v_add_co_u32 v129, s6, s10, v69
	v_mad_u16 v67, 0x3cc, v71, v74
	ds_read2_b64 v[69:72], v136 offset0:2 offset1:245
	v_add_co_u32 v73, vcc_lo, 0x1800, v64
	v_add_co_ci_u32_e32 v74, vcc_lo, 0, v66, vcc_lo
	v_lshlrev_b32_sdwa v152, v68, v67 dst_sel:DWORD dst_unused:UNUSED_PAD src0_sel:DWORD src1_sel:WORD_0
	ds_read2_b64 v[64:67], v131 offset1:243
	ds_read2_b64 v[92:95], v137 offset0:6 offset1:249
	s_waitcnt vmcnt(0) lgkmcnt(0)
	s_barrier
	buffer_gl0_inv
	v_add_co_ci_u32_e64 v130, null, s11, 0, s6
	s_mul_i32 s6, s1, 0xf30
	v_mul_f32_e32 v68, v76, v61
	v_mul_f32_e32 v79, v75, v61
	;; [unrolled: 1-line block ×16, first 2 shown]
	v_fma_f32 v68, v75, v60, -v68
	v_fmac_f32_e32 v79, v76, v60
	v_fma_f32 v76, v84, v62, -v153
	v_fmac_f32_e32 v154, v85, v62
	;; [unrolled: 2-line block ×8, first 2 shown]
	v_add_f32_e32 v71, v64, v68
	v_add_f32_e32 v78, v65, v79
	v_sub_f32_e32 v86, v79, v154
	v_add_f32_e32 v79, v79, v154
	v_add_f32_e32 v85, v68, v76
	;; [unrolled: 1-line block ×4, first 2 shown]
	v_sub_f32_e32 v87, v68, v76
	v_add_f32_e32 v88, v67, v149
	v_sub_f32_e32 v90, v149, v156
	v_add_f32_e32 v91, v66, v75
	;; [unrolled: 2-line block ×4, first 2 shown]
	v_add_f32_e32 v157, v92, v69
	v_add_f32_e32 v158, v69, v72
	v_sub_f32_e32 v159, v69, v72
	v_add_f32_e32 v163, v160, v164
	v_add_f32_e32 v165, v94, v70
	;; [unrolled: 1-line block ×5, first 2 shown]
	v_fma_f32 v64, -0.5, v85, v64
	v_fma_f32 v65, -0.5, v79, v65
	;; [unrolled: 1-line block ×3, first 2 shown]
	v_fmac_f32_e32 v67, -0.5, v89
	v_add_f32_e32 v161, v95, v160
	v_sub_f32_e32 v160, v160, v164
	v_sub_f32_e32 v167, v70, v84
	v_add_f32_e32 v70, v91, v77
	v_add_f32_e32 v77, v165, v84
	v_fma_f32 v84, -0.5, v158, v92
	v_fma_f32 v85, -0.5, v155, v93
	;; [unrolled: 1-line block ×3, first 2 shown]
	v_fmac_f32_e32 v95, -0.5, v163
	ds_write_b64 v131, v[68:69]
	v_fmamk_f32 v68, v86, 0x3f5db3d7, v64
	v_fmamk_f32 v69, v87, 0xbf5db3d7, v65
	v_fmac_f32_e32 v64, 0xbf5db3d7, v86
	v_fmac_f32_e32 v65, 0x3f5db3d7, v87
	v_fmamk_f32 v86, v90, 0x3f5db3d7, v66
	v_fmac_f32_e32 v66, 0xbf5db3d7, v90
	v_fmamk_f32 v87, v149, 0xbf5db3d7, v67
	v_fmac_f32_e32 v67, 0x3f5db3d7, v149
	v_add_f32_e32 v71, v88, v156
	v_add_f32_e32 v76, v75, v162
	;; [unrolled: 1-line block ×4, first 2 shown]
	v_fmamk_f32 v88, v153, 0x3f5db3d7, v84
	v_fmac_f32_e32 v84, 0xbf5db3d7, v153
	v_fmamk_f32 v89, v159, 0xbf5db3d7, v85
	v_fmac_f32_e32 v85, 0x3f5db3d7, v159
	;; [unrolled: 2-line block ×4, first 2 shown]
	ds_write_b64 v131, v[68:69] offset:2592
	ds_write_b64 v131, v[64:65] offset:5184
	;; [unrolled: 1-line block ×3, first 2 shown]
	ds_write_b64 v150, v[70:71]
	ds_write_b64 v150, v[86:87] offset:2592
	ds_write_b64 v152, v[75:76]
	ds_write_b64 v152, v[88:89] offset:2592
	ds_write_b64 v152, v[84:85] offset:5184
	ds_write_b64 v151, v[94:95] offset:20736
	ds_write_b64 v151, v[77:78] offset:15552
	ds_write_b64 v151, v[90:91] offset:18144
	v_add_co_u32 v64, vcc_lo, 0x1800, v98
	v_add_co_ci_u32_e32 v65, vcc_lo, 0, v99, vcc_lo
	v_add_co_u32 v66, vcc_lo, 0x1800, v129
	s_waitcnt lgkmcnt(0)
	s_barrier
	buffer_gl0_inv
	s_clause 0x1
	global_load_dwordx4 v[76:79], v[96:97], off offset:1584
	global_load_dwordx4 v[68:71], v[73:74], off offset:1584
	v_add_co_ci_u32_e32 v67, vcc_lo, 0, v130, vcc_lo
	s_clause 0x1
	global_load_dwordx4 v[72:75], v[64:65], off offset:1584
	global_load_dwordx4 v[64:67], v[66:67], off offset:1584
	ds_read2_b64 v[84:87], v135 offset0:12 offset1:255
	ds_read2_b64 v[88:91], v133 offset0:8 offset1:251
	;; [unrolled: 1-line block ×4, first 2 shown]
	ds_read2_b64 v[153:156], v131 offset1:243
	ds_read2_b64 v[157:160], v137 offset0:6 offset1:249
	v_add_co_u32 v129, vcc_lo, 0x5800, v80
	v_add_co_ci_u32_e32 v130, vcc_lo, 0, v81, vcc_lo
	v_add_nc_u32_e32 v148, 0x4400, v131
	v_add_nc_u32_e32 v149, 0x25c0, v131
	s_waitcnt vmcnt(3) lgkmcnt(5)
	v_mul_f32_e32 v161, v85, v77
	v_mul_f32_e32 v162, v84, v77
	s_waitcnt vmcnt(2)
	v_mul_f32_e32 v163, v87, v69
	s_waitcnt lgkmcnt(4)
	v_mul_f32_e32 v165, v89, v79
	v_mul_f32_e32 v166, v88, v79
	;; [unrolled: 1-line block ×5, first 2 shown]
	s_waitcnt vmcnt(1) lgkmcnt(3)
	v_mul_f32_e32 v169, v93, v73
	v_mul_f32_e32 v170, v92, v73
	s_waitcnt lgkmcnt(2)
	v_mul_f32_e32 v171, v97, v75
	v_mul_f32_e32 v172, v96, v75
	s_waitcnt vmcnt(0)
	v_mul_f32_e32 v173, v95, v65
	v_mul_f32_e32 v174, v94, v65
	;; [unrolled: 1-line block ×4, first 2 shown]
	v_fma_f32 v84, v84, v76, -v161
	v_fmac_f32_e32 v162, v85, v76
	v_fma_f32 v85, v86, v68, -v163
	v_fmac_f32_e32 v166, v89, v78
	;; [unrolled: 2-line block ×8, first 2 shown]
	v_add_f32_e32 v91, v84, v86
	v_add_f32_e32 v93, v162, v166
	s_waitcnt lgkmcnt(1)
	v_add_f32_e32 v90, v154, v162
	v_sub_f32_e32 v98, v162, v166
	v_add_f32_e32 v162, v164, v168
	v_add_f32_e32 v163, v85, v88
	;; [unrolled: 1-line block ×5, first 2 shown]
	v_sub_f32_e32 v99, v84, v86
	v_add_f32_e32 v96, v155, v85
	v_add_f32_e32 v97, v156, v164
	v_sub_f32_e32 v161, v164, v168
	v_sub_f32_e32 v164, v85, v88
	s_waitcnt lgkmcnt(0)
	v_add_f32_e32 v175, v160, v174
	v_sub_f32_e32 v178, v174, v176
	v_add_f32_e32 v174, v174, v176
	v_add_f32_e32 v179, v89, v94
	v_fma_f32 v84, -0.5, v91, v153
	v_fma_f32 v85, -0.5, v93, v154
	v_sub_f32_e32 v169, v170, v172
	v_sub_f32_e32 v171, v87, v92
	v_add_f32_e32 v173, v157, v87
	v_add_f32_e32 v87, v90, v166
	v_fma_f32 v155, -0.5, v163, v155
	v_fmac_f32_e32 v156, -0.5, v162
	v_fma_f32 v90, -0.5, v165, v157
	v_fma_f32 v91, -0.5, v167, v158
	v_add_f32_e32 v170, v158, v170
	v_add_f32_e32 v177, v159, v89
	v_sub_f32_e32 v180, v89, v94
	v_add_f32_e32 v88, v96, v88
	v_add_f32_e32 v89, v97, v168
	v_fma_f32 v159, -0.5, v179, v159
	v_fmac_f32_e32 v160, -0.5, v174
	v_fmamk_f32 v96, v98, 0x3f5db3d7, v84
	v_fmamk_f32 v97, v99, 0xbf5db3d7, v85
	v_fmac_f32_e32 v84, 0xbf5db3d7, v98
	v_fmac_f32_e32 v85, 0x3f5db3d7, v99
	v_add_f32_e32 v86, v95, v86
	v_fmamk_f32 v98, v161, 0x3f5db3d7, v155
	v_fmac_f32_e32 v155, 0xbf5db3d7, v161
	v_fmamk_f32 v99, v164, 0xbf5db3d7, v156
	v_fmac_f32_e32 v156, 0x3f5db3d7, v164
	;; [unrolled: 2-line block ×4, first 2 shown]
	v_add_f32_e32 v92, v173, v92
	v_add_f32_e32 v93, v170, v172
	v_add_f32_e32 v95, v175, v176
	v_add_f32_e32 v94, v177, v94
	v_fmamk_f32 v157, v178, 0x3f5db3d7, v159
	v_fmac_f32_e32 v159, 0xbf5db3d7, v178
	v_fmamk_f32 v158, v180, 0xbf5db3d7, v160
	v_fmac_f32_e32 v160, 0x3f5db3d7, v180
	ds_write_b64 v131, v[96:97] offset:7776
	ds_write_b64 v131, v[84:85] offset:15552
	ds_write2_b64 v131, v[86:87], v[88:89] offset1:243
	ds_write2_b64 v148, v[155:156], v[90:91] offset0:11 offset1:254
	ds_write2_b64 v149, v[98:99], v[153:154] offset0:7 offset1:250
	;; [unrolled: 1-line block ×3, first 2 shown]
	ds_write_b64 v131, v[159:160] offset:21384
	ds_write_b64 v131, v[157:158] offset:13608
	s_waitcnt lgkmcnt(0)
	s_barrier
	buffer_gl0_inv
	global_load_dwordx2 v[88:89], v[129:130], off offset:800
	v_add_co_u32 v84, vcc_lo, 0x5b20, v80
	v_add_co_ci_u32_e32 v85, vcc_lo, 0, v81, vcc_lo
	v_add_co_u32 v86, vcc_lo, 0x6800, v80
	v_add_co_ci_u32_e32 v87, vcc_lo, 0, v81, vcc_lo
	;; [unrolled: 2-line block ×3, first 2 shown]
	s_clause 0x2
	global_load_dwordx2 v[129:130], v[86:87], off offset:592
	global_load_dwordx2 v[157:158], v[90:91], off offset:384
	;; [unrolled: 1-line block ×3, first 2 shown]
	v_add_co_u32 v92, vcc_lo, 0x7000, v80
	v_add_co_ci_u32_e32 v93, vcc_lo, 0, v81, vcc_lo
	v_add_co_u32 v84, vcc_lo, 0x8000, v80
	v_add_co_ci_u32_e32 v85, vcc_lo, 0, v81, vcc_lo
	;; [unrolled: 2-line block ×4, first 2 shown]
	s_clause 0x1
	global_load_dwordx2 v[161:162], v[92:93], off offset:488
	global_load_dwordx2 v[163:164], v[84:85], off offset:280
	v_add_co_u32 v84, vcc_lo, 0x9800, v80
	v_add_co_ci_u32_e32 v85, vcc_lo, 0, v81, vcc_lo
	s_clause 0x1
	global_load_dwordx2 v[165:166], v[86:87], off offset:176
	global_load_dwordx2 v[167:168], v[90:91], off offset:72
	v_add_co_u32 v86, vcc_lo, 0xa000, v80
	v_add_co_ci_u32_e32 v87, vcc_lo, 0, v81, vcc_lo
	v_add_co_u32 v80, vcc_lo, 0xa800, v80
	v_add_co_ci_u32_e32 v81, vcc_lo, 0, v81, vcc_lo
	s_clause 0x3
	global_load_dwordx2 v[169:170], v[90:91], off offset:2016
	global_load_dwordx2 v[171:172], v[84:85], off offset:1912
	;; [unrolled: 1-line block ×4, first 2 shown]
	ds_read2_b64 v[84:87], v131 offset1:243
	v_add_nc_u32_e32 v177, 0x780, v131
	v_add_nc_u32_e32 v178, 0x3500, v131
	s_waitcnt vmcnt(11) lgkmcnt(0)
	v_mul_f32_e32 v91, v85, v89
	v_mul_f32_e32 v90, v84, v89
	v_fma_f32 v89, v84, v88, -v91
	v_fmac_f32_e32 v90, v85, v88
	ds_write_b64 v131, v[89:90]
	ds_read2_b64 v[88:91], v137 offset0:6 offset1:249
	ds_read2_b64 v[92:95], v135 offset0:12 offset1:255
	ds_read2_b64 v[96:99], v136 offset0:2 offset1:245
	ds_read2_b64 v[153:156], v133 offset0:8 offset1:251
	s_waitcnt vmcnt(8)
	v_mul_f32_e32 v84, v87, v160
	v_mul_f32_e32 v176, v86, v160
	v_add_nc_u32_e32 v160, 0x1680, v131
	v_fma_f32 v175, v86, v159, -v84
	v_fmac_f32_e32 v176, v87, v159
	ds_read2_b64 v[84:87], v134 offset0:6 offset1:249
	s_waitcnt lgkmcnt(4)
	v_mul_f32_e32 v159, v88, v130
	v_mul_f32_e32 v179, v89, v130
	s_waitcnt vmcnt(7)
	v_mul_f32_e32 v180, v91, v162
	v_mul_f32_e32 v130, v90, v162
	s_waitcnt lgkmcnt(3)
	v_mul_f32_e32 v162, v92, v158
	v_mul_f32_e32 v181, v93, v158
	v_fmac_f32_e32 v159, v89, v129
	s_waitcnt vmcnt(6)
	v_mul_f32_e32 v89, v94, v164
	v_fma_f32 v158, v88, v129, -v179
	v_mul_f32_e32 v88, v95, v164
	s_waitcnt vmcnt(4) lgkmcnt(2)
	v_mul_f32_e32 v179, v99, v168
	v_mul_f32_e32 v164, v98, v168
	v_fmac_f32_e32 v162, v93, v157
	v_fma_f32 v129, v90, v161, -v180
	v_mul_f32_e32 v90, v97, v166
	s_waitcnt vmcnt(3) lgkmcnt(1)
	v_mul_f32_e32 v168, v154, v170
	v_mul_f32_e32 v93, v153, v170
	v_fmac_f32_e32 v130, v91, v161
	v_mul_f32_e32 v91, v96, v166
	v_fma_f32 v161, v92, v157, -v181
	s_waitcnt vmcnt(2)
	v_mul_f32_e32 v170, v156, v172
	v_fmac_f32_e32 v89, v95, v163
	v_mul_f32_e32 v95, v155, v172
	s_waitcnt vmcnt(1) lgkmcnt(0)
	v_mul_f32_e32 v172, v85, v174
	v_mul_f32_e32 v157, v84, v174
	s_waitcnt vmcnt(0)
	v_mul_f32_e32 v174, v87, v81
	v_mul_f32_e32 v166, v86, v81
	v_fma_f32 v88, v94, v163, -v88
	v_fma_f32 v163, v98, v167, -v179
	v_fmac_f32_e32 v164, v99, v167
	v_fma_f32 v92, v153, v169, -v168
	v_fmac_f32_e32 v93, v154, v169
	;; [unrolled: 2-line block ×6, first 2 shown]
	ds_write2_b64 v177, v[175:176], v[158:159] offset0:3 offset1:246
	ds_write2_b64 v160, v[129:130], v[161:162] offset0:9 offset1:252
	ds_write2_b64 v178, v[163:164], v[92:93] offset0:5 offset1:248
	ds_write2_b64 v149, v[88:89], v[90:91] offset0:7 offset1:250
	ds_write2_b64 v148, v[94:95], v[156:157] offset0:11 offset1:254
	ds_write_b64 v131, v[165:166] offset:21384
	s_waitcnt lgkmcnt(0)
	s_barrier
	buffer_gl0_inv
	ds_read2_b64 v[84:87], v136 offset0:2 offset1:245
	ds_read2_b64 v[88:91], v134 offset0:6 offset1:249
	ds_read2_b64 v[92:95], v131 offset1:243
	ds_read2_b64 v[96:99], v135 offset0:12 offset1:255
	ds_read2_b64 v[153:156], v133 offset0:8 offset1:251
	;; [unrolled: 1-line block ×3, first 2 shown]
	s_waitcnt lgkmcnt(0)
	s_barrier
	buffer_gl0_inv
	v_add_f32_e32 v80, v85, v89
	v_add_f32_e32 v81, v84, v88
	v_sub_f32_e32 v129, v84, v88
	v_add_f32_e32 v161, v92, v96
	v_add_f32_e32 v84, v157, v84
	;; [unrolled: 1-line block ×5, first 2 shown]
	v_fma_f32 v80, -0.5, v80, v158
	v_sub_f32_e32 v96, v96, v153
	v_add_f32_e32 v165, v94, v98
	v_sub_f32_e32 v169, v98, v155
	v_add_f32_e32 v98, v159, v86
	v_add_f32_e32 v170, v86, v90
	;; [unrolled: 1-line block ×3, first 2 shown]
	v_sub_f32_e32 v86, v86, v90
	v_add_f32_e32 v153, v161, v153
	v_add_f32_e32 v88, v84, v88
	v_fmac_f32_e32 v160, -0.5, v172
	v_sub_f32_e32 v130, v85, v89
	v_add_f32_e32 v163, v93, v97
	v_add_f32_e32 v164, v97, v154
	v_sub_f32_e32 v97, v97, v154
	v_fma_f32 v81, -0.5, v81, v157
	v_fma_f32 v157, -0.5, v162, v92
	v_fma_f32 v161, -0.5, v166, v94
	v_fmamk_f32 v94, v129, 0x3f5db3d7, v80
	v_fmac_f32_e32 v80, 0xbf5db3d7, v129
	v_add_f32_e32 v167, v95, v99
	v_sub_f32_e32 v168, v99, v156
	v_add_f32_e32 v99, v99, v156
	v_sub_f32_e32 v87, v87, v91
	v_add_f32_e32 v98, v98, v90
	v_fma_f32 v159, -0.5, v170, v159
	v_add_f32_e32 v84, v153, v88
	v_sub_f32_e32 v90, v153, v88
	v_fmamk_f32 v88, v86, 0x3f5db3d7, v160
	v_fmac_f32_e32 v160, 0xbf5db3d7, v86
	v_add_f32_e32 v85, v158, v85
	v_add_f32_e32 v92, v163, v154
	v_fma_f32 v158, -0.5, v164, v93
	v_fmamk_f32 v162, v130, 0xbf5db3d7, v81
	v_fmamk_f32 v163, v97, 0xbf5db3d7, v157
	v_fmac_f32_e32 v157, 0x3f5db3d7, v97
	v_mul_f32_e32 v97, 0xbf5db3d7, v94
	v_mul_f32_e32 v94, 0.5, v94
	v_fmac_f32_e32 v81, 0x3f5db3d7, v130
	v_mul_f32_e32 v130, 0xbf5db3d7, v80
	v_mul_f32_e32 v80, -0.5, v80
	v_add_f32_e32 v154, v165, v155
	v_add_f32_e32 v155, v167, v156
	v_fmac_f32_e32 v95, -0.5, v99
	v_fmamk_f32 v86, v87, 0xbf5db3d7, v159
	v_fmac_f32_e32 v159, 0x3f5db3d7, v87
	v_mul_f32_e32 v165, 0xbf5db3d7, v160
	v_mul_f32_e32 v160, -0.5, v160
	v_mul_f32_e32 v166, 0xbf5db3d7, v88
	v_mul_f32_e32 v167, 0.5, v88
	v_add_f32_e32 v89, v85, v89
	v_fmamk_f32 v164, v96, 0x3f5db3d7, v158
	v_fmac_f32_e32 v97, 0.5, v162
	v_fmac_f32_e32 v94, 0x3f5db3d7, v162
	v_fmac_f32_e32 v158, 0xbf5db3d7, v96
	v_fmac_f32_e32 v130, -0.5, v81
	v_fmac_f32_e32 v80, 0x3f5db3d7, v81
	v_add_f32_e32 v156, v171, v91
	v_fmamk_f32 v129, v169, 0x3f5db3d7, v95
	v_fmac_f32_e32 v95, 0xbf5db3d7, v169
	v_fmamk_f32 v96, v168, 0xbf5db3d7, v161
	v_fmac_f32_e32 v160, 0x3f5db3d7, v159
	v_fmac_f32_e32 v166, 0.5, v86
	v_fmac_f32_e32 v167, 0x3f5db3d7, v86
	v_fmac_f32_e32 v161, 0x3f5db3d7, v168
	v_fmac_f32_e32 v165, -0.5, v159
	v_add_f32_e32 v85, v92, v89
	v_add_f32_e32 v86, v163, v97
	;; [unrolled: 1-line block ×3, first 2 shown]
	v_sub_f32_e32 v91, v92, v89
	v_add_f32_e32 v88, v157, v130
	v_add_f32_e32 v89, v158, v80
	;; [unrolled: 1-line block ×4, first 2 shown]
	v_sub_f32_e32 v98, v154, v98
	v_sub_f32_e32 v99, v155, v156
	;; [unrolled: 1-line block ×6, first 2 shown]
	v_add_f32_e32 v97, v95, v160
	v_sub_f32_e32 v160, v95, v160
	v_add_f32_e32 v94, v96, v166
	v_add_f32_e32 v95, v129, v167
	v_sub_f32_e32 v157, v96, v166
	v_add_f32_e32 v96, v161, v165
	v_sub_f32_e32 v159, v161, v165
	v_sub_f32_e32 v158, v129, v167
	ds_write_b128 v83, v[84:87]
	ds_write_b128 v83, v[88:91] offset:16
	ds_write_b128 v83, v[153:156] offset:32
	ds_write_b128 v82, v[92:95]
	ds_write_b128 v82, v[96:99] offset:16
	ds_write_b128 v82, v[157:160] offset:32
	s_waitcnt lgkmcnt(0)
	s_barrier
	buffer_gl0_inv
	ds_read2_b64 v[80:83], v137 offset0:6 offset1:249
	ds_read2_b64 v[84:87], v135 offset0:12 offset1:255
	;; [unrolled: 1-line block ×5, first 2 shown]
	ds_read2_b64 v[96:99], v131 offset1:243
	v_mad_u64_u32 v[129:130], null, s2, v124, 0
	s_waitcnt lgkmcnt(0)
	s_barrier
	buffer_gl0_inv
	s_mul_i32 s2, s0, 0xf30
	v_mul_f32_e32 v157, v45, v81
	v_mul_f32_e32 v45, v45, v80
	;; [unrolled: 1-line block ×20, first 2 shown]
	v_fmac_f32_e32 v161, v36, v88
	v_fma_f32 v36, v36, v89, -v37
	v_fmac_f32_e32 v163, v32, v90
	v_fma_f32 v32, v32, v91, -v33
	;; [unrolled: 2-line block ×3, first 2 shown]
	v_fma_f32 v34, v127, v154, -v128
	v_fmac_f32_e32 v157, v44, v80
	v_fma_f32 v44, v44, v81, -v45
	v_fma_f32 v45, v46, v85, -v47
	;; [unrolled: 1-line block ×3, first 2 shown]
	v_fmac_f32_e32 v165, v127, v153
	v_fma_f32 v35, v125, v156, -v126
	v_fmac_f32_e32 v158, v46, v84
	v_fmac_f32_e32 v159, v40, v82
	v_fma_f32 v40, v40, v83, -v41
	v_fmac_f32_e32 v160, v42, v86
	v_fma_f32 v41, v42, v87, -v43
	v_fmac_f32_e32 v162, v38, v92
	v_add_f32_e32 v47, v36, v34
	v_fmac_f32_e32 v166, v125, v155
	v_add_f32_e32 v43, v97, v45
	v_sub_f32_e32 v46, v45, v37
	v_add_f32_e32 v45, v45, v37
	v_add_f32_e32 v82, v161, v165
	;; [unrolled: 1-line block ×7, first 2 shown]
	v_sub_f32_e32 v83, v161, v165
	v_add_f32_e32 v84, v98, v160
	v_add_f32_e32 v85, v160, v164
	;; [unrolled: 1-line block ×4, first 2 shown]
	v_fmac_f32_e32 v44, -0.5, v47
	v_sub_f32_e32 v42, v158, v162
	v_add_f32_e32 v88, v41, v33
	v_add_f32_e32 v90, v40, v32
	;; [unrolled: 1-line block ×3, first 2 shown]
	v_sub_f32_e32 v93, v163, v166
	v_fmac_f32_e32 v157, -0.5, v82
	v_fma_f32 v82, -0.5, v45, v97
	v_fmac_f32_e32 v40, -0.5, v89
	v_sub_f32_e32 v36, v36, v34
	v_add_f32_e32 v38, v38, v162
	v_add_f32_e32 v37, v43, v37
	;; [unrolled: 1-line block ×5, first 2 shown]
	v_fma_f32 v81, -0.5, v39, v96
	v_add_f32_e32 v39, v87, v33
	v_add_f32_e32 v45, v91, v166
	v_fma_f32 v87, -0.5, v85, v98
	v_fmamk_f32 v85, v83, 0x3f5db3d7, v44
	v_fmac_f32_e32 v44, 0xbf5db3d7, v83
	v_sub_f32_e32 v86, v160, v164
	v_sub_f32_e32 v94, v32, v35
	v_fmac_f32_e32 v99, -0.5, v88
	v_fmac_f32_e32 v159, -0.5, v92
	v_add_f32_e32 v84, v90, v35
	v_fmamk_f32 v90, v42, 0x3f5db3d7, v82
	v_fmac_f32_e32 v82, 0xbf5db3d7, v42
	v_fmamk_f32 v42, v93, 0x3f5db3d7, v40
	v_fmac_f32_e32 v40, 0xbf5db3d7, v93
	v_fmamk_f32 v88, v36, 0xbf5db3d7, v157
	v_add_f32_e32 v32, v38, v43
	v_fmamk_f32 v89, v46, 0xbf5db3d7, v81
	v_sub_f32_e32 v34, v38, v43
	v_fmac_f32_e32 v81, 0x3f5db3d7, v46
	v_fmac_f32_e32 v157, 0x3f5db3d7, v36
	v_add_f32_e32 v36, v80, v45
	v_sub_f32_e32 v38, v80, v45
	v_mul_f32_e32 v45, 0xbf5db3d7, v85
	v_mul_f32_e32 v46, 0.5, v85
	v_sub_f32_e32 v41, v41, v33
	v_add_f32_e32 v33, v37, v47
	v_sub_f32_e32 v35, v37, v47
	v_mul_f32_e32 v47, 0xbf5db3d7, v44
	v_mul_f32_e32 v80, -0.5, v44
	v_fmamk_f32 v43, v94, 0xbf5db3d7, v159
	v_fmamk_f32 v92, v86, 0x3f5db3d7, v99
	v_fmac_f32_e32 v99, 0xbf5db3d7, v86
	v_mul_f32_e32 v86, 0xbf5db3d7, v42
	v_mul_f32_e32 v93, 0.5, v42
	v_add_f32_e32 v37, v39, v84
	v_sub_f32_e32 v39, v39, v84
	v_fmac_f32_e32 v159, 0x3f5db3d7, v94
	v_mul_f32_e32 v84, 0xbf5db3d7, v40
	v_mul_f32_e32 v85, -0.5, v40
	v_fmac_f32_e32 v45, 0.5, v88
	v_fmac_f32_e32 v46, 0x3f5db3d7, v88
	v_fmac_f32_e32 v47, -0.5, v157
	v_fmac_f32_e32 v80, 0x3f5db3d7, v157
	v_fmamk_f32 v91, v41, 0xbf5db3d7, v87
	v_fmac_f32_e32 v86, 0.5, v43
	v_fmac_f32_e32 v93, 0x3f5db3d7, v43
	v_fmac_f32_e32 v87, 0x3f5db3d7, v41
	v_fmac_f32_e32 v84, -0.5, v159
	v_fmac_f32_e32 v85, 0x3f5db3d7, v159
	v_add_f32_e32 v40, v89, v45
	v_add_f32_e32 v41, v90, v46
	v_add_f32_e32 v42, v81, v47
	v_add_f32_e32 v43, v82, v80
	v_sub_f32_e32 v44, v89, v45
	v_sub_f32_e32 v45, v90, v46
	;; [unrolled: 1-line block ×4, first 2 shown]
	v_mad_u64_u32 v[88:89], null, s0, v132, 0
	v_add_f32_e32 v80, v91, v86
	v_add_f32_e32 v81, v92, v93
	;; [unrolled: 1-line block ×4, first 2 shown]
	v_sub_f32_e32 v85, v99, v85
	v_sub_f32_e32 v84, v87, v84
	;; [unrolled: 1-line block ×4, first 2 shown]
	ds_write2_b64 v138, v[32:33], v[40:41] offset1:6
	ds_write2_b64 v138, v[42:43], v[34:35] offset0:12 offset1:18
	ds_write2_b64 v138, v[44:45], v[46:47] offset0:24 offset1:30
	ds_write2_b64 v140, v[36:37], v[80:81] offset1:6
	ds_write2_b64 v140, v[82:83], v[38:39] offset0:12 offset1:18
	ds_write2_b64 v140, v[86:87], v[84:85] offset0:24 offset1:30
	s_waitcnt lgkmcnt(0)
	s_barrier
	buffer_gl0_inv
	ds_read2_b64 v[32:35], v135 offset0:12 offset1:255
	ds_read2_b64 v[36:39], v133 offset0:8 offset1:251
	;; [unrolled: 1-line block ×4, first 2 shown]
	v_mov_b32_e32 v80, v130
	v_mov_b32_e32 v81, v89
	v_mad_u64_u32 v[89:90], null, s3, v124, v[80:81]
	v_mad_u64_u32 v[90:91], null, s1, v132, v[81:82]
	ds_read2_b64 v[80:83], v131 offset1:243
	ds_read2_b64 v[84:87], v137 offset0:6 offset1:249
	s_waitcnt lgkmcnt(0)
	s_barrier
	buffer_gl0_inv
	v_mov_b32_e32 v130, v89
	s_mul_hi_u32 s3, s0, 0xf30
	v_mul_f32_e32 v91, v13, v33
	v_mul_f32_e32 v13, v13, v32
	;; [unrolled: 1-line block ×16, first 2 shown]
	v_fmac_f32_e32 v91, v12, v32
	v_fma_f32 v12, v12, v33, -v13
	v_fmac_f32_e32 v92, v14, v36
	v_fma_f32 v13, v14, v37, -v15
	;; [unrolled: 2-line block ×8, first 2 shown]
	v_add_f32_e32 v3, v12, v13
	v_add_f32_e32 v2, v80, v91
	;; [unrolled: 1-line block ×4, first 2 shown]
	v_sub_f32_e32 v14, v12, v13
	v_add_f32_e32 v7, v83, v8
	v_sub_f32_e32 v32, v8, v9
	v_add_f32_e32 v8, v8, v9
	v_add_f32_e32 v12, v93, v94
	;; [unrolled: 1-line block ×4, first 2 shown]
	v_sub_f32_e32 v15, v91, v92
	v_add_f32_e32 v40, v87, v0
	v_sub_f32_e32 v41, v0, v10
	v_add_f32_e32 v42, v0, v10
	v_add_f32_e32 v44, v97, v98
	;; [unrolled: 1-line block ×3, first 2 shown]
	v_fma_f32 v2, -0.5, v5, v80
	v_fma_f32 v3, -0.5, v3, v81
	v_add_f32_e32 v11, v82, v93
	v_sub_f32_e32 v33, v93, v94
	v_fma_f32 v82, -0.5, v12, v82
	v_fmac_f32_e32 v83, -0.5, v8
	v_add_f32_e32 v34, v85, v4
	v_sub_f32_e32 v35, v4, v6
	v_add_f32_e32 v37, v84, v95
	v_sub_f32_e32 v39, v95, v96
	v_add_f32_e32 v5, v7, v9
	v_fma_f32 v8, -0.5, v38, v84
	v_fma_f32 v9, -0.5, v36, v85
	v_add_f32_e32 v43, v86, v97
	v_sub_f32_e32 v45, v97, v98
	v_add_f32_e32 v1, v1, v13
	v_fma_f32 v86, -0.5, v44, v86
	v_fmac_f32_e32 v87, -0.5, v42
	v_fmamk_f32 v12, v14, 0xbf5db3d7, v2
	v_fmamk_f32 v13, v15, 0x3f5db3d7, v3
	v_fmac_f32_e32 v2, 0x3f5db3d7, v14
	v_fmac_f32_e32 v3, 0xbf5db3d7, v15
	v_add_f32_e32 v4, v11, v94
	v_fmamk_f32 v14, v32, 0xbf5db3d7, v82
	v_fmamk_f32 v15, v33, 0x3f5db3d7, v83
	v_fmac_f32_e32 v82, 0x3f5db3d7, v32
	v_fmac_f32_e32 v83, 0xbf5db3d7, v33
	v_add_f32_e32 v7, v34, v6
	v_add_f32_e32 v6, v37, v96
	v_fmamk_f32 v32, v35, 0xbf5db3d7, v8
	v_fmamk_f32 v33, v39, 0x3f5db3d7, v9
	v_add_f32_e32 v11, v40, v10
	v_add_f32_e32 v10, v43, v98
	v_fmac_f32_e32 v8, 0x3f5db3d7, v35
	v_fmac_f32_e32 v9, 0xbf5db3d7, v39
	v_fmamk_f32 v34, v41, 0xbf5db3d7, v86
	v_fmamk_f32 v35, v45, 0x3f5db3d7, v87
	v_fmac_f32_e32 v86, 0x3f5db3d7, v41
	v_fmac_f32_e32 v87, 0xbf5db3d7, v45
	ds_write2_b64 v139, v[0:1], v[12:13] offset1:36
	ds_write_b64 v139, v[2:3] offset:576
	ds_write2_b64 v142, v[4:5], v[14:15] offset1:36
	ds_write_b64 v142, v[82:83] offset:576
	;; [unrolled: 2-line block ×4, first 2 shown]
	s_waitcnt lgkmcnt(0)
	s_barrier
	buffer_gl0_inv
	ds_read2_b64 v[0:3], v135 offset0:12 offset1:255
	ds_read2_b64 v[4:7], v133 offset0:8 offset1:251
	;; [unrolled: 1-line block ×4, first 2 shown]
	v_lshlrev_b64 v[32:33], 3, v[129:130]
	v_mov_b32_e32 v89, v90
	s_add_i32 s3, s3, s6
	s_mulk_i32 s1, 0xbba8
	v_add_co_u32 v42, vcc_lo, s4, v32
	v_add_co_ci_u32_e32 v43, vcc_lo, s5, v33, vcc_lo
	ds_read2_b64 v[32:35], v131 offset1:243
	ds_read2_b64 v[36:39], v137 offset0:6 offset1:249
	s_waitcnt lgkmcnt(0)
	s_barrier
	buffer_gl0_inv
	v_lshlrev_b64 v[40:41], 3, v[88:89]
	v_mul_f32_e32 v44, v29, v1
	v_mul_f32_e32 v29, v29, v0
	;; [unrolled: 1-line block ×16, first 2 shown]
	v_fmac_f32_e32 v44, v28, v0
	v_fma_f32 v0, v28, v1, -v29
	v_fmac_f32_e32 v45, v30, v4
	v_fma_f32 v1, v30, v5, -v31
	;; [unrolled: 2-line block ×8, first 2 shown]
	v_add_f32_e32 v9, v0, v1
	v_add_f32_e32 v10, v44, v45
	;; [unrolled: 1-line block ×8, first 2 shown]
	v_sub_f32_e32 v14, v0, v1
	v_add_f32_e32 v0, v32, v44
	v_sub_f32_e32 v15, v44, v45
	v_sub_f32_e32 v16, v2, v4
	v_add_f32_e32 v13, v34, v46
	v_add_f32_e32 v20, v37, v3
	v_sub_f32_e32 v21, v3, v6
	v_add_f32_e32 v27, v5, v8
	v_add_f32_e32 v29, v82, v83
	v_fma_f32 v2, -0.5, v10, v32
	v_fma_f32 v3, -0.5, v9, v33
	v_sub_f32_e32 v18, v46, v47
	v_fma_f32 v34, -0.5, v17, v34
	v_fmac_f32_e32 v35, -0.5, v12
	v_add_f32_e32 v19, v36, v80
	v_sub_f32_e32 v24, v80, v81
	v_add_f32_e32 v25, v39, v5
	v_sub_f32_e32 v26, v5, v8
	v_add_f32_e32 v28, v38, v82
	v_add_f32_e32 v5, v11, v4
	v_fma_f32 v10, -0.5, v23, v36
	v_fma_f32 v11, -0.5, v22, v37
	v_sub_f32_e32 v30, v82, v83
	v_add_f32_e32 v1, v7, v1
	v_add_f32_e32 v0, v0, v45
	;; [unrolled: 1-line block ×3, first 2 shown]
	v_fma_f32 v38, -0.5, v29, v38
	v_fmac_f32_e32 v39, -0.5, v27
	v_fmamk_f32 v12, v14, 0xbf5db3d7, v2
	v_fmamk_f32 v13, v15, 0x3f5db3d7, v3
	v_fmac_f32_e32 v2, 0x3f5db3d7, v14
	v_fmac_f32_e32 v3, 0xbf5db3d7, v15
	v_fmamk_f32 v14, v16, 0xbf5db3d7, v34
	v_fmamk_f32 v15, v18, 0x3f5db3d7, v35
	v_fmac_f32_e32 v34, 0x3f5db3d7, v16
	v_fmac_f32_e32 v35, 0xbf5db3d7, v18
	v_add_f32_e32 v7, v20, v6
	v_add_f32_e32 v6, v19, v81
	;; [unrolled: 1-line block ×4, first 2 shown]
	v_fmamk_f32 v16, v21, 0xbf5db3d7, v10
	v_fmac_f32_e32 v10, 0x3f5db3d7, v21
	v_fmamk_f32 v17, v24, 0x3f5db3d7, v11
	v_fmac_f32_e32 v11, 0xbf5db3d7, v24
	;; [unrolled: 2-line block ×4, first 2 shown]
	ds_write2_b64 v144, v[0:1], v[12:13] offset1:108
	ds_write_b64 v144, v[2:3] offset:1728
	ds_write2_b64 v147, v[4:5], v[14:15] offset1:108
	ds_write_b64 v147, v[34:35] offset:1728
	;; [unrolled: 2-line block ×4, first 2 shown]
	s_waitcnt lgkmcnt(0)
	s_barrier
	buffer_gl0_inv
	ds_read2_b64 v[6:9], v135 offset0:12 offset1:255
	ds_read2_b64 v[10:13], v133 offset0:8 offset1:251
	;; [unrolled: 1-line block ×4, first 2 shown]
	ds_read2_b64 v[22:25], v131 offset1:243
	ds_read2_b64 v[26:29], v137 offset0:6 offset1:249
	v_add_co_u32 v0, vcc_lo, v42, v40
	v_add_co_ci_u32_e32 v1, vcc_lo, v43, v41, vcc_lo
	s_waitcnt lgkmcnt(0)
	s_barrier
	buffer_gl0_inv
	v_add_co_u32 v2, vcc_lo, v0, s2
	v_add_co_ci_u32_e32 v3, vcc_lo, s3, v1, vcc_lo
	v_add_co_u32 v4, vcc_lo, v2, s2
	v_add_co_ci_u32_e32 v5, vcc_lo, s3, v3, vcc_lo
	v_mul_f32_e32 v30, v61, v7
	v_mul_f32_e32 v31, v61, v6
	;; [unrolled: 1-line block ×16, first 2 shown]
	v_fmac_f32_e32 v30, v60, v6
	v_fma_f32 v6, v60, v7, -v31
	v_fmac_f32_e32 v32, v62, v10
	v_fma_f32 v7, v62, v11, -v33
	v_fmac_f32_e32 v34, v48, v8
	v_fma_f32 v8, v48, v9, -v35
	v_fmac_f32_e32 v36, v50, v12
	v_fma_f32 v9, v50, v13, -v37
	v_fmac_f32_e32 v38, v56, v14
	v_fma_f32 v10, v56, v15, -v39
	v_fmac_f32_e32 v40, v58, v18
	v_fma_f32 v13, v58, v19, -v41
	v_fmac_f32_e32 v42, v52, v16
	v_fma_f32 v11, v52, v17, -v43
	v_fmac_f32_e32 v44, v54, v20
	v_fma_f32 v17, v54, v21, -v45
	v_add_f32_e32 v14, v30, v32
	v_add_f32_e32 v16, v6, v7
	;; [unrolled: 1-line block ×10, first 2 shown]
	v_sub_f32_e32 v19, v6, v7
	v_sub_f32_e32 v20, v30, v32
	v_add_f32_e32 v18, v24, v34
	v_sub_f32_e32 v39, v10, v13
	v_add_f32_e32 v41, v27, v10
	;; [unrolled: 2-line block ×3, first 2 shown]
	v_fma_f32 v10, -0.5, v14, v22
	v_fma_f32 v11, -0.5, v16, v23
	v_add_f32_e32 v31, v25, v8
	v_sub_f32_e32 v30, v8, v9
	v_sub_f32_e32 v34, v34, v36
	v_add_f32_e32 v35, v26, v38
	v_sub_f32_e32 v38, v38, v40
	v_add_f32_e32 v45, v28, v42
	v_add_f32_e32 v7, v15, v7
	v_fma_f32 v24, -0.5, v21, v24
	v_fmac_f32_e32 v25, -0.5, v33
	v_fma_f32 v14, -0.5, v37, v26
	v_fma_f32 v15, -0.5, v43, v27
	v_sub_f32_e32 v42, v42, v44
	v_add_f32_e32 v6, v12, v32
	v_fma_f32 v28, -0.5, v46, v28
	v_fmac_f32_e32 v29, -0.5, v49
	v_add_f32_e32 v8, v18, v36
	v_fmamk_f32 v18, v19, 0xbf5db3d7, v10
	v_fmac_f32_e32 v10, 0x3f5db3d7, v19
	v_fmamk_f32 v19, v20, 0x3f5db3d7, v11
	v_fmac_f32_e32 v11, 0xbf5db3d7, v20
	v_add_f32_e32 v9, v31, v9
	v_add_f32_e32 v12, v35, v40
	v_add_f32_e32 v13, v41, v13
	v_add_f32_e32 v16, v45, v44
	v_add_f32_e32 v17, v48, v17
	v_fmamk_f32 v20, v30, 0xbf5db3d7, v24
	v_fmamk_f32 v21, v34, 0x3f5db3d7, v25
	;; [unrolled: 1-line block ×3, first 2 shown]
	v_fmac_f32_e32 v14, 0x3f5db3d7, v39
	v_fmamk_f32 v23, v38, 0x3f5db3d7, v15
	v_fmac_f32_e32 v15, 0xbf5db3d7, v38
	v_fmac_f32_e32 v24, 0x3f5db3d7, v30
	;; [unrolled: 1-line block ×3, first 2 shown]
	v_fmamk_f32 v26, v47, 0xbf5db3d7, v28
	v_fmac_f32_e32 v28, 0x3f5db3d7, v47
	v_fmamk_f32 v27, v42, 0x3f5db3d7, v29
	v_fmac_f32_e32 v29, 0xbf5db3d7, v42
	ds_write_b64 v131, v[6:7]
	ds_write_b64 v131, v[18:19] offset:2592
	ds_write_b64 v131, v[10:11] offset:5184
	ds_write_b64 v150, v[8:9]
	ds_write_b64 v150, v[20:21] offset:2592
	ds_write_b64 v150, v[24:25] offset:5184
	;; [unrolled: 3-line block ×3, first 2 shown]
	ds_write_b64 v151, v[16:17] offset:15552
	ds_write_b64 v151, v[26:27] offset:18144
	;; [unrolled: 1-line block ×3, first 2 shown]
	s_waitcnt lgkmcnt(0)
	s_barrier
	buffer_gl0_inv
	ds_read2_b64 v[12:15], v135 offset0:12 offset1:255
	ds_read2_b64 v[16:19], v133 offset0:8 offset1:251
	;; [unrolled: 1-line block ×4, first 2 shown]
	ds_read2_b64 v[28:31], v131 offset1:243
	ds_read2_b64 v[32:35], v137 offset0:6 offset1:249
	v_add_co_u32 v6, vcc_lo, v4, s2
	v_add_co_ci_u32_e32 v7, vcc_lo, s3, v5, vcc_lo
	v_add_co_u32 v8, vcc_lo, v6, s2
	v_add_co_ci_u32_e32 v9, vcc_lo, s3, v7, vcc_lo
	;; [unrolled: 2-line block ×3, first 2 shown]
	s_waitcnt lgkmcnt(5)
	v_mul_f32_e32 v38, v77, v13
	v_mul_f32_e32 v39, v77, v12
	s_waitcnt lgkmcnt(4)
	v_mul_f32_e32 v40, v79, v17
	v_mul_f32_e32 v41, v79, v16
	v_mul_f32_e32 v42, v69, v15
	v_mul_f32_e32 v43, v69, v14
	v_mul_f32_e32 v44, v71, v19
	v_mul_f32_e32 v45, v71, v18
	s_waitcnt lgkmcnt(3)
	v_mul_f32_e32 v46, v73, v21
	v_mul_f32_e32 v47, v73, v20
	s_waitcnt lgkmcnt(2)
	v_mul_f32_e32 v48, v75, v25
	v_mul_f32_e32 v49, v75, v24
	;; [unrolled: 1-line block ×6, first 2 shown]
	v_fmac_f32_e32 v38, v76, v12
	v_fma_f32 v12, v76, v13, -v39
	v_fmac_f32_e32 v40, v78, v16
	v_fma_f32 v13, v78, v17, -v41
	;; [unrolled: 2-line block ×8, first 2 shown]
	v_add_f32_e32 v20, v38, v40
	v_add_f32_e32 v22, v12, v13
	s_waitcnt lgkmcnt(1)
	v_add_f32_e32 v21, v29, v12
	v_add_f32_e32 v27, v42, v44
	;; [unrolled: 1-line block ×6, first 2 shown]
	v_sub_f32_e32 v25, v12, v13
	v_sub_f32_e32 v26, v38, v40
	v_add_f32_e32 v24, v30, v42
	v_sub_f32_e32 v38, v14, v17
	v_add_f32_e32 v39, v31, v14
	v_sub_f32_e32 v47, v15, v19
	s_waitcnt lgkmcnt(0)
	v_add_f32_e32 v49, v33, v15
	v_add_f32_e32 v54, v50, v52
	v_add_f32_e32 v57, v16, v23
	v_fma_f32 v14, -0.5, v20, v28
	v_fma_f32 v15, -0.5, v22, v29
	v_sub_f32_e32 v42, v42, v44
	v_add_f32_e32 v43, v32, v46
	v_sub_f32_e32 v46, v46, v48
	v_add_f32_e32 v13, v21, v13
	v_fma_f32 v30, -0.5, v27, v30
	v_fmac_f32_e32 v31, -0.5, v41
	v_fma_f32 v20, -0.5, v45, v32
	v_fma_f32 v21, -0.5, v51, v33
	v_add_f32_e32 v53, v34, v50
	v_sub_f32_e32 v55, v16, v23
	v_add_f32_e32 v56, v35, v16
	v_sub_f32_e32 v50, v50, v52
	v_add_f32_e32 v16, v24, v44
	v_fma_f32 v34, -0.5, v54, v34
	v_fmac_f32_e32 v35, -0.5, v57
	v_fmamk_f32 v24, v25, 0xbf5db3d7, v14
	v_fmac_f32_e32 v14, 0x3f5db3d7, v25
	v_fmamk_f32 v25, v26, 0x3f5db3d7, v15
	v_fmac_f32_e32 v15, 0xbf5db3d7, v26
	v_add_f32_e32 v12, v18, v40
	v_add_f32_e32 v17, v39, v17
	v_fmamk_f32 v26, v38, 0xbf5db3d7, v30
	v_fmamk_f32 v27, v42, 0x3f5db3d7, v31
	;; [unrolled: 1-line block ×4, first 2 shown]
	v_add_f32_e32 v18, v43, v48
	v_add_f32_e32 v19, v49, v19
	v_fmac_f32_e32 v30, 0x3f5db3d7, v38
	v_fmac_f32_e32 v31, 0xbf5db3d7, v42
	;; [unrolled: 1-line block ×4, first 2 shown]
	v_add_f32_e32 v22, v53, v52
	v_add_f32_e32 v23, v56, v23
	v_fmamk_f32 v32, v55, 0xbf5db3d7, v34
	v_fmac_f32_e32 v34, 0x3f5db3d7, v55
	v_fmamk_f32 v33, v50, 0x3f5db3d7, v35
	v_fmac_f32_e32 v35, 0xbf5db3d7, v50
	ds_write_b64 v131, v[24:25] offset:7776
	ds_write_b64 v131, v[14:15] offset:15552
	ds_write2_b64 v131, v[12:13], v[16:17] offset1:243
	ds_write2_b64 v149, v[26:27], v[28:29] offset0:7 offset1:250
	ds_write2_b64 v148, v[30:31], v[20:21] offset0:11 offset1:254
	;; [unrolled: 1-line block ×3, first 2 shown]
	ds_write_b64 v131, v[32:33] offset:13608
	ds_write_b64 v131, v[34:35] offset:21384
	s_waitcnt lgkmcnt(0)
	s_barrier
	buffer_gl0_inv
	ds_read2_b64 v[12:15], v131 offset1:243
	ds_read2_b64 v[16:19], v137 offset0:6 offset1:249
	ds_read2_b64 v[20:23], v135 offset0:12 offset1:255
	;; [unrolled: 1-line block ×5, first 2 shown]
	v_mad_u64_u32 v[36:37], null, 0xffffbba8, s0, v[10:11]
	s_sub_i32 s0, s1, s0
	v_add_nc_u32_e32 v37, s0, v37
	s_mov_b32 s0, 0xe0bf08c7
	s_mov_b32 s1, 0x3f367980
	v_add_co_u32 v38, vcc_lo, v36, s2
	v_add_co_ci_u32_e32 v39, vcc_lo, s3, v37, vcc_lo
	s_waitcnt lgkmcnt(5)
	v_mul_f32_e32 v42, v103, v13
	v_mul_f32_e32 v43, v103, v12
	s_waitcnt lgkmcnt(4)
	v_mul_f32_e32 v44, v105, v17
	v_mul_f32_e32 v45, v105, v16
	s_waitcnt lgkmcnt(3)
	v_mul_f32_e32 v46, v107, v21
	v_mul_f32_e32 v47, v107, v20
	s_waitcnt lgkmcnt(2)
	v_mul_f32_e32 v48, v113, v25
	v_mul_f32_e32 v49, v113, v24
	s_waitcnt lgkmcnt(1)
	v_mul_f32_e32 v50, v115, v29
	v_mul_f32_e32 v51, v115, v28
	s_waitcnt lgkmcnt(0)
	v_mul_f32_e32 v52, v117, v33
	v_mul_f32_e32 v53, v117, v32
	v_mul_f32_e32 v54, v101, v15
	v_mul_f32_e32 v55, v101, v14
	v_fmac_f32_e32 v42, v102, v12
	v_fma_f32 v43, v102, v13, -v43
	v_mul_f32_e32 v56, v109, v19
	v_mul_f32_e32 v57, v109, v18
	v_fmac_f32_e32 v44, v104, v16
	v_fma_f32 v45, v104, v17, -v45
	;; [unrolled: 4-line block ×6, first 2 shown]
	v_fmac_f32_e32 v54, v100, v14
	v_fma_f32 v55, v100, v15, -v55
	v_cvt_f64_f32_e32 v[12:13], v42
	v_cvt_f64_f32_e32 v[14:15], v43
	v_fmac_f32_e32 v56, v108, v18
	v_fma_f32 v57, v108, v19, -v57
	v_cvt_f64_f32_e32 v[16:17], v44
	v_cvt_f64_f32_e32 v[18:19], v45
	;; [unrolled: 4-line block ×6, first 2 shown]
	v_cvt_f64_f32_e32 v[42:43], v54
	v_cvt_f64_f32_e32 v[44:45], v55
	;; [unrolled: 1-line block ×12, first 2 shown]
	v_mul_f64 v[12:13], v[12:13], s[0:1]
	v_mul_f64 v[14:15], v[14:15], s[0:1]
	;; [unrolled: 1-line block ×24, first 2 shown]
	v_cvt_f32_f64_e32 v12, v[12:13]
	v_cvt_f32_f64_e32 v13, v[14:15]
	;; [unrolled: 1-line block ×10, first 2 shown]
	v_add_co_u32 v40, vcc_lo, v38, s2
	v_cvt_f32_f64_e32 v22, v[32:33]
	v_cvt_f32_f64_e32 v23, v[34:35]
	;; [unrolled: 1-line block ×4, first 2 shown]
	v_add_co_ci_u32_e32 v41, vcc_lo, s3, v39, vcc_lo
	v_cvt_f32_f64_e32 v26, v[46:47]
	v_cvt_f32_f64_e32 v27, v[48:49]
	;; [unrolled: 1-line block ×8, first 2 shown]
	v_add_co_u32 v42, vcc_lo, v40, s2
	v_cvt_f32_f64_e32 v34, v[62:63]
	v_cvt_f32_f64_e32 v35, v[64:65]
	v_add_co_ci_u32_e32 v43, vcc_lo, s3, v41, vcc_lo
	v_add_co_u32 v44, vcc_lo, v42, s2
	v_add_co_ci_u32_e32 v45, vcc_lo, s3, v43, vcc_lo
	v_add_co_u32 v46, vcc_lo, v44, s2
	v_add_co_ci_u32_e32 v47, vcc_lo, s3, v45, vcc_lo
	global_store_dwordx2 v[0:1], v[12:13], off
	global_store_dwordx2 v[2:3], v[14:15], off
	global_store_dwordx2 v[4:5], v[16:17], off
	global_store_dwordx2 v[6:7], v[18:19], off
	global_store_dwordx2 v[8:9], v[20:21], off
	global_store_dwordx2 v[10:11], v[22:23], off
	global_store_dwordx2 v[36:37], v[24:25], off
	global_store_dwordx2 v[38:39], v[26:27], off
	global_store_dwordx2 v[40:41], v[28:29], off
	global_store_dwordx2 v[42:43], v[30:31], off
	global_store_dwordx2 v[44:45], v[32:33], off
	global_store_dwordx2 v[46:47], v[34:35], off
.LBB0_2:
	s_endpgm
	.section	.rodata,"a",@progbits
	.p2align	6, 0x0
	.amdhsa_kernel bluestein_single_back_len2916_dim1_sp_op_CI_CI
		.amdhsa_group_segment_fixed_size 23328
		.amdhsa_private_segment_fixed_size 0
		.amdhsa_kernarg_size 104
		.amdhsa_user_sgpr_count 6
		.amdhsa_user_sgpr_private_segment_buffer 1
		.amdhsa_user_sgpr_dispatch_ptr 0
		.amdhsa_user_sgpr_queue_ptr 0
		.amdhsa_user_sgpr_kernarg_segment_ptr 1
		.amdhsa_user_sgpr_dispatch_id 0
		.amdhsa_user_sgpr_flat_scratch_init 0
		.amdhsa_user_sgpr_private_segment_size 0
		.amdhsa_wavefront_size32 1
		.amdhsa_uses_dynamic_stack 0
		.amdhsa_system_sgpr_private_segment_wavefront_offset 0
		.amdhsa_system_sgpr_workgroup_id_x 1
		.amdhsa_system_sgpr_workgroup_id_y 0
		.amdhsa_system_sgpr_workgroup_id_z 0
		.amdhsa_system_sgpr_workgroup_info 0
		.amdhsa_system_vgpr_workitem_id 0
		.amdhsa_next_free_vgpr 182
		.amdhsa_next_free_sgpr 20
		.amdhsa_reserve_vcc 1
		.amdhsa_reserve_flat_scratch 0
		.amdhsa_float_round_mode_32 0
		.amdhsa_float_round_mode_16_64 0
		.amdhsa_float_denorm_mode_32 3
		.amdhsa_float_denorm_mode_16_64 3
		.amdhsa_dx10_clamp 1
		.amdhsa_ieee_mode 1
		.amdhsa_fp16_overflow 0
		.amdhsa_workgroup_processor_mode 1
		.amdhsa_memory_ordered 1
		.amdhsa_forward_progress 0
		.amdhsa_shared_vgpr_count 0
		.amdhsa_exception_fp_ieee_invalid_op 0
		.amdhsa_exception_fp_denorm_src 0
		.amdhsa_exception_fp_ieee_div_zero 0
		.amdhsa_exception_fp_ieee_overflow 0
		.amdhsa_exception_fp_ieee_underflow 0
		.amdhsa_exception_fp_ieee_inexact 0
		.amdhsa_exception_int_div_zero 0
	.end_amdhsa_kernel
	.text
.Lfunc_end0:
	.size	bluestein_single_back_len2916_dim1_sp_op_CI_CI, .Lfunc_end0-bluestein_single_back_len2916_dim1_sp_op_CI_CI
                                        ; -- End function
	.section	.AMDGPU.csdata,"",@progbits
; Kernel info:
; codeLenInByte = 12500
; NumSgprs: 22
; NumVgprs: 182
; ScratchSize: 0
; MemoryBound: 0
; FloatMode: 240
; IeeeMode: 1
; LDSByteSize: 23328 bytes/workgroup (compile time only)
; SGPRBlocks: 2
; VGPRBlocks: 22
; NumSGPRsForWavesPerEU: 22
; NumVGPRsForWavesPerEU: 182
; Occupancy: 5
; WaveLimiterHint : 1
; COMPUTE_PGM_RSRC2:SCRATCH_EN: 0
; COMPUTE_PGM_RSRC2:USER_SGPR: 6
; COMPUTE_PGM_RSRC2:TRAP_HANDLER: 0
; COMPUTE_PGM_RSRC2:TGID_X_EN: 1
; COMPUTE_PGM_RSRC2:TGID_Y_EN: 0
; COMPUTE_PGM_RSRC2:TGID_Z_EN: 0
; COMPUTE_PGM_RSRC2:TIDIG_COMP_CNT: 0
	.text
	.p2alignl 6, 3214868480
	.fill 48, 4, 3214868480
	.type	__hip_cuid_4dbe3211c9ad065,@object ; @__hip_cuid_4dbe3211c9ad065
	.section	.bss,"aw",@nobits
	.globl	__hip_cuid_4dbe3211c9ad065
__hip_cuid_4dbe3211c9ad065:
	.byte	0                               ; 0x0
	.size	__hip_cuid_4dbe3211c9ad065, 1

	.ident	"AMD clang version 19.0.0git (https://github.com/RadeonOpenCompute/llvm-project roc-6.4.0 25133 c7fe45cf4b819c5991fe208aaa96edf142730f1d)"
	.section	".note.GNU-stack","",@progbits
	.addrsig
	.addrsig_sym __hip_cuid_4dbe3211c9ad065
	.amdgpu_metadata
---
amdhsa.kernels:
  - .args:
      - .actual_access:  read_only
        .address_space:  global
        .offset:         0
        .size:           8
        .value_kind:     global_buffer
      - .actual_access:  read_only
        .address_space:  global
        .offset:         8
        .size:           8
        .value_kind:     global_buffer
      - .actual_access:  read_only
        .address_space:  global
        .offset:         16
        .size:           8
        .value_kind:     global_buffer
      - .actual_access:  read_only
        .address_space:  global
        .offset:         24
        .size:           8
        .value_kind:     global_buffer
      - .actual_access:  read_only
        .address_space:  global
        .offset:         32
        .size:           8
        .value_kind:     global_buffer
      - .offset:         40
        .size:           8
        .value_kind:     by_value
      - .address_space:  global
        .offset:         48
        .size:           8
        .value_kind:     global_buffer
      - .address_space:  global
        .offset:         56
        .size:           8
        .value_kind:     global_buffer
      - .address_space:  global
        .offset:         64
        .size:           8
        .value_kind:     global_buffer
      - .address_space:  global
        .offset:         72
        .size:           8
        .value_kind:     global_buffer
      - .offset:         80
        .size:           4
        .value_kind:     by_value
      - .address_space:  global
        .offset:         88
        .size:           8
        .value_kind:     global_buffer
      - .address_space:  global
        .offset:         96
        .size:           8
        .value_kind:     global_buffer
    .group_segment_fixed_size: 23328
    .kernarg_segment_align: 8
    .kernarg_segment_size: 104
    .language:       OpenCL C
    .language_version:
      - 2
      - 0
    .max_flat_workgroup_size: 243
    .name:           bluestein_single_back_len2916_dim1_sp_op_CI_CI
    .private_segment_fixed_size: 0
    .sgpr_count:     22
    .sgpr_spill_count: 0
    .symbol:         bluestein_single_back_len2916_dim1_sp_op_CI_CI.kd
    .uniform_work_group_size: 1
    .uses_dynamic_stack: false
    .vgpr_count:     182
    .vgpr_spill_count: 0
    .wavefront_size: 32
    .workgroup_processor_mode: 1
amdhsa.target:   amdgcn-amd-amdhsa--gfx1030
amdhsa.version:
  - 1
  - 2
...

	.end_amdgpu_metadata
